;; amdgpu-corpus repo=pytorch/pytorch kind=compiled arch=gfx1030 opt=O3
	.amdgcn_target "amdgcn-amd-amdhsa--gfx1030"
	.amdhsa_code_object_version 6
	.text
	.p2align	2                               ; -- Begin function _ZN2at6native25elementwise_kernel_helperILb0EZZZNS0_12_GLOBAL__N_130modified_bessel_i0_kernel_cudaERNS_18TensorIteratorBaseEENKUlvE_clEvENKUlvE_clEvEUldE_NS0_6memory8policies11unroll_baseILi256ESt5arrayIPcLm2EE23TrivialOffsetCalculatorILi1EjESF_NS8_15LoadWithoutCastENS8_16StoreWithoutCastELi4ELi1EEEEEvT0_T1_
	.type	_ZN2at6native25elementwise_kernel_helperILb0EZZZNS0_12_GLOBAL__N_130modified_bessel_i0_kernel_cudaERNS_18TensorIteratorBaseEENKUlvE_clEvENKUlvE_clEvEUldE_NS0_6memory8policies11unroll_baseILi256ESt5arrayIPcLm2EE23TrivialOffsetCalculatorILi1EjESF_NS8_15LoadWithoutCastENS8_16StoreWithoutCastELi4ELi1EEEEEvT0_T1_,@function
_ZN2at6native25elementwise_kernel_helperILb0EZZZNS0_12_GLOBAL__N_130modified_bessel_i0_kernel_cudaERNS_18TensorIteratorBaseEENKUlvE_clEvENKUlvE_clEvEUldE_NS0_6memory8policies11unroll_baseILi256ESt5arrayIPcLm2EE23TrivialOffsetCalculatorILi1EjESF_NS8_15LoadWithoutCastENS8_16StoreWithoutCastELi4ELi1EEEEEvT0_T1_: ; @_ZN2at6native25elementwise_kernel_helperILb0EZZZNS0_12_GLOBAL__N_130modified_bessel_i0_kernel_cudaERNS_18TensorIteratorBaseEENKUlvE_clEvENKUlvE_clEvEUldE_NS0_6memory8policies11unroll_baseILi256ESt5arrayIPcLm2EE23TrivialOffsetCalculatorILi1EjESF_NS8_15LoadWithoutCastENS8_16StoreWithoutCastELi4ELi1EEEEEvT0_T1_
; %bb.0:
	s_waitcnt vmcnt(0) expcnt(0) lgkmcnt(0)
	v_and_b32_e32 v20, 0x3ff, v31
	s_lshl_b32 s6, s12, 10
	v_mov_b32_e32 v16, 0
	v_mov_b32_e32 v18, 0
	;; [unrolled: 1-line block ×3, first 2 shown]
	v_cmp_lt_i32_e64 s4, v20, v4
	v_or_b32_e32 v5, s6, v20
	v_add_nc_u32_e32 v21, 0x100, v20
	v_mov_b32_e32 v19, 0
	v_mov_b32_e32 v10, v20
	s_and_saveexec_b32 s5, s4
	s_cbranch_execz .LBB0_2
; %bb.1:
	v_mov_b32_e32 v6, 0
	v_add_nc_u32_e32 v10, 0x100, v20
	v_lshlrev_b64 v[6:7], 3, v[5:6]
	v_add_co_u32 v6, vcc_lo, v2, v6
	v_add_co_ci_u32_e64 v7, null, v3, v7, vcc_lo
	flat_load_dwordx2 v[18:19], v[6:7]
	s_waitcnt vmcnt(0) lgkmcnt(0)
	v_and_b32_e32 v19, 0x7fffffff, v19
.LBB0_2:
	s_or_b32 exec_lo, exec_lo, s5
	s_mov_b32 s5, exec_lo
	v_cmpx_lt_i32_e64 v10, v4
	s_cbranch_execz .LBB0_4
; %bb.3:
	v_add_nc_u32_e32 v6, s6, v10
	v_mov_b32_e32 v7, 0
	v_add_nc_u32_e32 v10, 0x100, v10
	v_lshlrev_b64 v[6:7], 3, v[6:7]
	v_add_co_u32 v6, vcc_lo, v2, v6
	v_add_co_ci_u32_e64 v7, null, v3, v7, vcc_lo
	flat_load_dwordx2 v[16:17], v[6:7]
	s_waitcnt vmcnt(0) lgkmcnt(0)
	v_and_b32_e32 v17, 0x7fffffff, v17
.LBB0_4:
	s_or_b32 exec_lo, exec_lo, s5
	v_mov_b32_e32 v6, 0
	v_mov_b32_e32 v8, 0
	;; [unrolled: 1-line block ×4, first 2 shown]
	s_mov_b32 s5, exec_lo
	v_cmpx_lt_i32_e64 v10, v4
	s_cbranch_execz .LBB0_6
; %bb.5:
	v_add_nc_u32_e32 v8, s6, v10
	v_mov_b32_e32 v9, 0
	v_add_nc_u32_e32 v10, 0x100, v10
	v_lshlrev_b64 v[8:9], 3, v[8:9]
	v_add_co_u32 v8, vcc_lo, v2, v8
	v_add_co_ci_u32_e64 v9, null, v3, v9, vcc_lo
	flat_load_dwordx2 v[8:9], v[8:9]
	s_waitcnt vmcnt(0) lgkmcnt(0)
	v_and_b32_e32 v9, 0x7fffffff, v9
.LBB0_6:
	s_or_b32 exec_lo, exec_lo, s5
	s_mov_b32 s5, exec_lo
	v_cmpx_lt_i32_e64 v10, v4
	s_cbranch_execz .LBB0_8
; %bb.7:
	v_add_nc_u32_e32 v6, s6, v10
	v_mov_b32_e32 v7, 0
	v_lshlrev_b64 v[6:7], 3, v[6:7]
	v_add_co_u32 v2, vcc_lo, v2, v6
	v_add_co_ci_u32_e64 v3, null, v3, v7, vcc_lo
	flat_load_dwordx2 v[6:7], v[2:3]
	s_waitcnt vmcnt(0) lgkmcnt(0)
	v_and_b32_e32 v7, 0x7fffffff, v7
.LBB0_8:
	s_or_b32 exec_lo, exec_lo, s5
	v_mov_b32_e32 v2, 0
	v_mov_b32_e32 v3, v2
	v_mov_b32_e32 v14, v2
	v_mov_b32_e32 v15, v2
	v_mov_b32_e32 v12, v2
	v_mov_b32_e32 v13, v2
	v_mov_b32_e32 v10, v2
	v_mov_b32_e32 v11, v2
	s_and_saveexec_b32 s7, s4
	s_cbranch_execz .LBB0_14
; %bb.9:
	s_mov_b32 s5, exec_lo
                                        ; implicit-def: $vgpr2_vgpr3
	v_cmpx_ge_f64_e32 0x40200000, v[18:19]
	s_xor_b32 s5, exec_lo, s5
	s_cbranch_execz .LBB0_11
; %bb.10:
	v_fma_f64 v[2:3], v[18:19], 0.5, -2.0
	s_mov_b32 s8, 0x977da589
	s_mov_b32 s9, 0x3c833362
	;; [unrolled: 1-line block ×4, first 2 shown]
	v_fma_f64 v[10:11], v[2:3], s[10:11], s[8:9]
	s_mov_b32 s11, 0x3c545cb7
	s_mov_b32 s8, 0x721ebbb4
	s_mov_b32 s9, 0xbcb184eb
	v_fma_f64 v[12:13], v[2:3], v[10:11], s[10:11]
	s_mov_b32 s10, 0x3b39803f
	s_mov_b32 s11, 0xbc7abc9e
	v_add_f64 v[12:13], v[12:13], s[8:9]
	s_mov_b32 s8, 0x93f65eba
	s_mov_b32 s9, 0x3cdee6d8
	v_fma_f64 v[10:11], v[2:3], v[12:13], -v[10:11]
	v_add_f64 v[10:11], v[10:11], s[8:9]
	s_mov_b32 s8, 0xc297fbeb
	s_mov_b32 s9, 0xbd0a5022
	v_fma_f64 v[12:13], v[2:3], v[10:11], -v[12:13]
	;; [unrolled: 4-line block ×20, first 2 shown]
	v_add_f64 v[12:13], v[12:13], s[8:9]
	s_mov_b32 s8, 0x652b82fe
	s_mov_b32 s9, 0x3ff71547
	v_mul_f64 v[14:15], v[18:19], s[8:9]
	s_mov_b32 s8, 0xf3dde3dd
	s_mov_b32 s9, 0x3f859961
	v_fma_f64 v[10:11], v[2:3], v[12:13], -v[10:11]
	v_rndne_f64_e32 v[14:15], v[14:15]
	v_add_f64 v[10:11], v[10:11], s[8:9]
	s_mov_b32 s8, 0xfefa39ef
	s_mov_b32 s9, 0xbfe62e42
	v_fma_f64 v[18:19], v[14:15], s[8:9], v[18:19]
	s_mov_b32 s8, 0xf121b6f0
	s_mov_b32 s9, 0xbf984e9e
	v_fma_f64 v[12:13], v[2:3], v[10:11], -v[12:13]
	v_fma_f64 v[18:19], v[14:15], s[10:11], v[18:19]
	s_mov_b32 s10, 0x6a5dcb37
	s_mov_b32 s11, 0x3e5ade15
	v_cvt_i32_f64_e32 v14, v[14:15]
	v_add_f64 v[12:13], v[12:13], s[8:9]
	s_mov_b32 s8, 0xfca7ab0c
	s_mov_b32 s9, 0x3e928af3
	v_fma_f64 v[22:23], v[18:19], s[10:11], s[8:9]
	s_mov_b32 s8, 0xcea8a32d
	s_mov_b32 s10, 0x623fde64
	;; [unrolled: 1-line block ×4, first 2 shown]
	v_fma_f64 v[10:11], v[2:3], v[12:13], -v[10:11]
	v_fma_f64 v[22:23], v[18:19], v[22:23], s[10:11]
	s_mov_b32 s10, 0x14761f6e
	s_mov_b32 s11, 0x3f2a01a0
	v_add_f64 v[10:11], v[10:11], s[8:9]
	s_mov_b32 s8, 0x7c89e6b0
	s_mov_b32 s9, 0x3efa0199
	v_fma_f64 v[22:23], v[18:19], v[22:23], s[8:9]
	s_mov_b32 s8, 0x342d06ea
	s_mov_b32 s9, 0xbfb84b70
	v_fma_f64 v[12:13], v[2:3], v[10:11], -v[12:13]
	v_fma_f64 v[22:23], v[18:19], v[22:23], s[10:11]
	s_mov_b32 s10, 0x11122322
	s_mov_b32 s11, 0x3f811111
	v_add_f64 v[12:13], v[12:13], s[8:9]
	s_mov_b32 s8, 0x1852b7b0
	s_mov_b32 s9, 0x3f56c16c
	v_fma_f64 v[22:23], v[18:19], v[22:23], s[8:9]
	s_mov_b32 s8, 0x77ac88c0
	s_mov_b32 s9, 0x3fc5f7ac
	;; [unrolled: 10-line block ×3, first 2 shown]
	v_fma_f64 v[12:13], v[2:3], v[10:11], -v[12:13]
	v_fma_f64 v[22:23], v[18:19], v[22:23], s[10:11]
	v_add_f64 v[12:13], v[12:13], s[8:9]
	s_mov_b32 s8, 11
	s_mov_b32 s9, 0x3fe00000
	v_fma_f64 v[22:23], v[18:19], v[22:23], s[8:9]
	s_mov_b32 s8, 0x9035a22a
	s_mov_b32 s9, 0x3fe5a84e
	v_fma_f64 v[2:3], v[2:3], v[12:13], -v[10:11]
	v_fma_f64 v[12:13], v[18:19], v[22:23], 1.0
	v_add_f64 v[2:3], v[2:3], s[8:9]
	v_fma_f64 v[12:13], v[18:19], v[12:13], 1.0
                                        ; implicit-def: $vgpr18_vgpr19
	v_add_f64 v[2:3], v[2:3], -v[10:11]
	v_ldexp_f64 v[10:11], v[12:13], v14
	v_mul_f64 v[2:3], v[2:3], 0.5
	v_mul_f64 v[2:3], v[10:11], v[2:3]
.LBB0_11:
	s_andn2_saveexec_b32 s8, s5
	s_cbranch_execz .LBB0_13
; %bb.12:
	v_div_scale_f64 v[2:3], null, v[18:19], v[18:19], 0x40400000
	v_div_scale_f64 v[14:15], vcc_lo, 0x40400000, v[18:19], 0x40400000
	s_mov_b32 s10, 0x66119130
	s_mov_b32 s11, 0xbc5646da
	;; [unrolled: 1-line block ×4, first 2 shown]
	v_cmp_nlt_f64_e64 s5, 0x40900000, v[18:19]
	v_rcp_f64_e32 v[10:11], v[2:3]
	v_fma_f64 v[12:13], -v[2:3], v[10:11], 1.0
	v_fma_f64 v[10:11], v[10:11], v[12:13], v[10:11]
	v_fma_f64 v[12:13], -v[2:3], v[10:11], 1.0
	v_fma_f64 v[10:11], v[10:11], v[12:13], v[10:11]
	v_mul_f64 v[12:13], v[14:15], v[10:11]
	v_fma_f64 v[2:3], -v[2:3], v[12:13], v[14:15]
	v_div_fmas_f64 v[2:3], v[2:3], v[10:11], v[12:13]
	v_cmp_gt_f64_e32 vcc_lo, 0x10000000, v[18:19]
	v_div_fixup_f64 v[2:3], v[2:3], v[18:19], 0x40400000
	v_cndmask_b32_e64 v26, 0, 0x100, vcc_lo
	v_ldexp_f64 v[26:27], v[18:19], v26
	v_add_f64 v[2:3], v[2:3], -2.0
	v_rsq_f64_e32 v[28:29], v[26:27]
	v_fma_f64 v[10:11], v[2:3], s[12:13], s[10:11]
	s_mov_b32 s13, 0x3c60adb7
	s_mov_b32 s10, 0x12d98421
	s_mov_b32 s11, 0x3c89be18
	v_mul_f64 v[30:31], v[26:27], v[28:29]
	v_mul_f64 v[28:29], v[28:29], 0.5
	v_fma_f64 v[12:13], v[2:3], v[10:11], s[12:13]
	s_mov_b32 s12, 0x6a5dcb37
	s_mov_b32 s13, 0x3e5ade15
	v_fma_f64 v[32:33], -v[28:29], v[30:31], 0.5
	v_add_f64 v[12:13], v[12:13], s[10:11]
	s_mov_b32 s10, 0x76041cd
	s_mov_b32 s11, 0x3c83f3dd
	v_fma_f64 v[30:31], v[30:31], v[32:33], v[30:31]
	v_fma_f64 v[28:29], v[28:29], v[32:33], v[28:29]
	v_fma_f64 v[10:11], v[2:3], v[12:13], -v[10:11]
	v_fma_f64 v[32:33], -v[30:31], v[30:31], v[26:27]
	v_add_f64 v[10:11], v[10:11], s[10:11]
	s_mov_b32 s10, 0xabd21fe4
	s_mov_b32 s11, 0xbcb4600b
	v_fma_f64 v[12:13], v[2:3], v[10:11], -v[12:13]
	v_add_f64 v[12:13], v[12:13], s[10:11]
	s_mov_b32 s10, 0xd908de38
	s_mov_b32 s11, 0xbcb8aee7
	v_fma_f64 v[10:11], v[2:3], v[12:13], -v[10:11]
	;; [unrolled: 4-line block ×14, first 2 shown]
	v_add_f64 v[10:11], v[10:11], s[10:11]
	s_mov_b32 s10, 0x652b82fe
	s_mov_b32 s11, 0x3ff71547
	v_mul_f64 v[14:15], v[18:19], s[10:11]
	s_mov_b32 s10, 0xa9225b87
	s_mov_b32 s11, 0x3e2d2c64
	v_fma_f64 v[12:13], v[2:3], v[10:11], -v[12:13]
	v_rndne_f64_e32 v[14:15], v[14:15]
	v_add_f64 v[12:13], v[12:13], s[10:11]
	s_mov_b32 s10, 0xfefa39ef
	s_mov_b32 s11, 0xbfe62e42
	v_fma_f64 v[22:23], v[14:15], s[10:11], v[18:19]
	s_mov_b32 s10, 0x3b39803f
	s_mov_b32 s11, 0xbc7abc9e
	v_fma_f64 v[10:11], v[2:3], v[12:13], -v[10:11]
	v_fma_f64 v[22:23], v[14:15], s[10:11], v[22:23]
	s_mov_b32 s10, 0x80d6d56d
	s_mov_b32 s11, 0x3e585692
	v_add_f64 v[10:11], v[10:11], s[10:11]
	s_mov_b32 s10, 0xfca7ab0c
	s_mov_b32 s11, 0x3e928af3
	v_fma_f64 v[24:25], v[22:23], s[12:13], s[10:11]
	s_mov_b32 s10, 0x623fde64
	s_mov_b32 s11, 0x3ec71dee
	v_fma_f64 v[12:13], v[2:3], v[10:11], -v[12:13]
	v_fma_f64 v[24:25], v[22:23], v[24:25], s[10:11]
	s_mov_b32 s10, 0xd9cd616e
	s_mov_b32 s11, 0x3e8b8007
	;; [unrolled: 10-line block ×5, first 2 shown]
	v_add_f64 v[10:11], v[10:11], s[10:11]
	s_mov_b32 s10, 11
	s_mov_b32 s11, 0x3fe00000
	v_fma_f64 v[24:25], v[22:23], v[24:25], s[10:11]
	s_mov_b32 s10, 0xaca809cb
	s_mov_b32 s11, 0x3fe9be62
	v_fma_f64 v[2:3], v[2:3], v[10:11], -v[12:13]
	v_fma_f64 v[10:11], v[32:33], v[28:29], v[30:31]
	v_cvt_i32_f64_e32 v32, v[14:15]
	v_fma_f64 v[24:25], v[22:23], v[24:25], 1.0
	v_add_f64 v[2:3], v[2:3], s[10:11]
	v_fma_f64 v[30:31], -v[10:11], v[10:11], v[26:27]
	v_fma_f64 v[14:15], v[22:23], v[24:25], 1.0
	v_add_f64 v[2:3], v[2:3], -v[12:13]
	v_fma_f64 v[10:11], v[30:31], v[28:29], v[10:11]
	v_ldexp_f64 v[12:13], v[14:15], v32
	v_cndmask_b32_e64 v14, 0, 0xffffff80, vcc_lo
	v_cmp_class_f64_e64 vcc_lo, v[26:27], 0x260
	v_mul_f64 v[2:3], v[2:3], 0.5
	v_ldexp_f64 v[10:11], v[10:11], v14
	v_cndmask_b32_e64 v13, 0x7ff00000, v13, s5
	v_cndmask_b32_e64 v12, 0, v12, s5
	v_mul_f64 v[2:3], v[12:13], v[2:3]
	v_cndmask_b32_e32 v11, v11, v27, vcc_lo
	v_cndmask_b32_e32 v10, v10, v26, vcc_lo
	v_div_scale_f64 v[12:13], null, v[10:11], v[10:11], v[2:3]
	v_rcp_f64_e32 v[14:15], v[12:13]
	v_fma_f64 v[18:19], -v[12:13], v[14:15], 1.0
	v_fma_f64 v[14:15], v[14:15], v[18:19], v[14:15]
	v_fma_f64 v[18:19], -v[12:13], v[14:15], 1.0
	v_fma_f64 v[14:15], v[14:15], v[18:19], v[14:15]
	v_div_scale_f64 v[18:19], vcc_lo, v[2:3], v[10:11], v[2:3]
	v_mul_f64 v[22:23], v[18:19], v[14:15]
	v_fma_f64 v[12:13], -v[12:13], v[22:23], v[18:19]
	v_div_fmas_f64 v[12:13], v[12:13], v[14:15], v[22:23]
	v_div_fixup_f64 v[2:3], v[12:13], v[10:11], v[2:3]
.LBB0_13:
	s_or_b32 exec_lo, exec_lo, s8
	v_mov_b32_e32 v14, 0
	v_mov_b32_e32 v15, v14
	;; [unrolled: 1-line block ×6, first 2 shown]
.LBB0_14:
	s_or_b32 exec_lo, exec_lo, s7
	s_mov_b32 s7, exec_lo
	v_cmpx_lt_i32_e64 v21, v4
	s_cbranch_execz .LBB0_20
; %bb.15:
	s_mov_b32 s5, exec_lo
	v_cmpx_ge_f64_e32 0x40200000, v[16:17]
	s_xor_b32 s5, exec_lo, s5
                                        ; implicit-def: $vgpr14_vgpr15
	s_cbranch_execz .LBB0_17
; %bb.16:
	v_fma_f64 v[14:15], v[16:17], 0.5, -2.0
	s_mov_b32 s8, 0x977da589
	s_mov_b32 s9, 0x3c833362
	;; [unrolled: 1-line block ×4, first 2 shown]
	v_fma_f64 v[18:19], v[14:15], s[10:11], s[8:9]
	s_mov_b32 s11, 0x3c545cb7
	s_mov_b32 s8, 0x721ebbb4
	;; [unrolled: 1-line block ×3, first 2 shown]
	v_fma_f64 v[22:23], v[14:15], v[18:19], s[10:11]
	s_mov_b32 s10, 0x3b39803f
	s_mov_b32 s11, 0xbc7abc9e
	v_add_f64 v[22:23], v[22:23], s[8:9]
	s_mov_b32 s8, 0x93f65eba
	s_mov_b32 s9, 0x3cdee6d8
	v_fma_f64 v[18:19], v[14:15], v[22:23], -v[18:19]
	v_add_f64 v[18:19], v[18:19], s[8:9]
	s_mov_b32 s8, 0xc297fbeb
	s_mov_b32 s9, 0xbd0a5022
	v_fma_f64 v[22:23], v[14:15], v[18:19], -v[22:23]
	;; [unrolled: 4-line block ×20, first 2 shown]
	v_add_f64 v[22:23], v[22:23], s[8:9]
	s_mov_b32 s8, 0x652b82fe
	s_mov_b32 s9, 0x3ff71547
	v_mul_f64 v[24:25], v[16:17], s[8:9]
	s_mov_b32 s8, 0xf3dde3dd
	s_mov_b32 s9, 0x3f859961
	v_fma_f64 v[18:19], v[14:15], v[22:23], -v[18:19]
	v_rndne_f64_e32 v[24:25], v[24:25]
	v_add_f64 v[18:19], v[18:19], s[8:9]
	s_mov_b32 s8, 0xfefa39ef
	s_mov_b32 s9, 0xbfe62e42
	v_fma_f64 v[16:17], v[24:25], s[8:9], v[16:17]
	s_mov_b32 s8, 0xf121b6f0
	s_mov_b32 s9, 0xbf984e9e
	v_fma_f64 v[22:23], v[14:15], v[18:19], -v[22:23]
	v_fma_f64 v[16:17], v[24:25], s[10:11], v[16:17]
	s_mov_b32 s10, 0x6a5dcb37
	s_mov_b32 s11, 0x3e5ade15
	v_add_f64 v[22:23], v[22:23], s[8:9]
	s_mov_b32 s8, 0xfca7ab0c
	s_mov_b32 s9, 0x3e928af3
	v_fma_f64 v[26:27], v[16:17], s[10:11], s[8:9]
	s_mov_b32 s8, 0xcea8a32d
	s_mov_b32 s10, 0x623fde64
	;; [unrolled: 1-line block ×4, first 2 shown]
	v_fma_f64 v[18:19], v[14:15], v[22:23], -v[18:19]
	v_fma_f64 v[26:27], v[16:17], v[26:27], s[10:11]
	s_mov_b32 s10, 0x14761f6e
	s_mov_b32 s11, 0x3f2a01a0
	v_add_f64 v[18:19], v[18:19], s[8:9]
	s_mov_b32 s8, 0x7c89e6b0
	s_mov_b32 s9, 0x3efa0199
	v_fma_f64 v[26:27], v[16:17], v[26:27], s[8:9]
	s_mov_b32 s8, 0x342d06ea
	s_mov_b32 s9, 0xbfb84b70
	v_fma_f64 v[22:23], v[14:15], v[18:19], -v[22:23]
	v_fma_f64 v[26:27], v[16:17], v[26:27], s[10:11]
	s_mov_b32 s10, 0x11122322
	s_mov_b32 s11, 0x3f811111
	v_add_f64 v[22:23], v[22:23], s[8:9]
	s_mov_b32 s8, 0x1852b7b0
	s_mov_b32 s9, 0x3f56c16c
	v_fma_f64 v[26:27], v[16:17], v[26:27], s[8:9]
	s_mov_b32 s8, 0x77ac88c0
	s_mov_b32 s9, 0x3fc5f7ac
	;; [unrolled: 10-line block ×3, first 2 shown]
	v_fma_f64 v[22:23], v[14:15], v[18:19], -v[22:23]
	v_fma_f64 v[26:27], v[16:17], v[26:27], s[10:11]
	v_add_f64 v[22:23], v[22:23], s[8:9]
	s_mov_b32 s8, 11
	s_mov_b32 s9, 0x3fe00000
	v_fma_f64 v[26:27], v[16:17], v[26:27], s[8:9]
	s_mov_b32 s8, 0x9035a22a
	s_mov_b32 s9, 0x3fe5a84e
	v_fma_f64 v[14:15], v[14:15], v[22:23], -v[18:19]
	v_fma_f64 v[22:23], v[16:17], v[26:27], 1.0
	v_add_f64 v[14:15], v[14:15], s[8:9]
	v_fma_f64 v[16:17], v[16:17], v[22:23], 1.0
	v_cvt_i32_f64_e32 v22, v[24:25]
	v_add_f64 v[14:15], v[14:15], -v[18:19]
	v_ldexp_f64 v[16:17], v[16:17], v22
	v_mul_f64 v[14:15], v[14:15], 0.5
	v_mul_f64 v[14:15], v[16:17], v[14:15]
                                        ; implicit-def: $vgpr16_vgpr17
.LBB0_17:
	s_andn2_saveexec_b32 s8, s5
	s_cbranch_execz .LBB0_19
; %bb.18:
	v_div_scale_f64 v[14:15], null, v[16:17], v[16:17], 0x40400000
	v_div_scale_f64 v[24:25], vcc_lo, 0x40400000, v[16:17], 0x40400000
	s_mov_b32 s10, 0x66119130
	s_mov_b32 s11, 0xbc5646da
	;; [unrolled: 1-line block ×4, first 2 shown]
	v_cmp_nlt_f64_e64 s5, 0x40900000, v[16:17]
	v_rcp_f64_e32 v[18:19], v[14:15]
	v_fma_f64 v[22:23], -v[14:15], v[18:19], 1.0
	v_fma_f64 v[18:19], v[18:19], v[22:23], v[18:19]
	v_fma_f64 v[22:23], -v[14:15], v[18:19], 1.0
	v_fma_f64 v[18:19], v[18:19], v[22:23], v[18:19]
	v_mul_f64 v[22:23], v[24:25], v[18:19]
	v_fma_f64 v[14:15], -v[14:15], v[22:23], v[24:25]
	v_div_fmas_f64 v[14:15], v[14:15], v[18:19], v[22:23]
	v_cmp_gt_f64_e32 vcc_lo, 0x10000000, v[16:17]
	v_div_fixup_f64 v[14:15], v[14:15], v[16:17], 0x40400000
	v_cndmask_b32_e64 v30, 0, 0x100, vcc_lo
	v_ldexp_f64 v[30:31], v[16:17], v30
	v_add_f64 v[14:15], v[14:15], -2.0
	v_rsq_f64_e32 v[32:33], v[30:31]
	v_fma_f64 v[18:19], v[14:15], s[12:13], s[10:11]
	s_mov_b32 s13, 0x3c60adb7
	s_mov_b32 s10, 0x12d98421
	;; [unrolled: 1-line block ×3, first 2 shown]
	v_mul_f64 v[34:35], v[30:31], v[32:33]
	v_mul_f64 v[32:33], v[32:33], 0.5
	v_fma_f64 v[22:23], v[14:15], v[18:19], s[12:13]
	s_mov_b32 s12, 0x6a5dcb37
	s_mov_b32 s13, 0x3e5ade15
	v_fma_f64 v[36:37], -v[32:33], v[34:35], 0.5
	v_add_f64 v[22:23], v[22:23], s[10:11]
	s_mov_b32 s10, 0x76041cd
	s_mov_b32 s11, 0x3c83f3dd
	v_fma_f64 v[34:35], v[34:35], v[36:37], v[34:35]
	v_fma_f64 v[32:33], v[32:33], v[36:37], v[32:33]
	v_fma_f64 v[18:19], v[14:15], v[22:23], -v[18:19]
	v_fma_f64 v[36:37], -v[34:35], v[34:35], v[30:31]
	v_add_f64 v[18:19], v[18:19], s[10:11]
	s_mov_b32 s10, 0xabd21fe4
	s_mov_b32 s11, 0xbcb4600b
	v_fma_f64 v[22:23], v[14:15], v[18:19], -v[22:23]
	v_add_f64 v[22:23], v[22:23], s[10:11]
	s_mov_b32 s10, 0xd908de38
	s_mov_b32 s11, 0xbcb8aee7
	v_fma_f64 v[18:19], v[14:15], v[22:23], -v[18:19]
	;; [unrolled: 4-line block ×14, first 2 shown]
	v_add_f64 v[18:19], v[18:19], s[10:11]
	s_mov_b32 s10, 0x652b82fe
	s_mov_b32 s11, 0x3ff71547
	v_mul_f64 v[24:25], v[16:17], s[10:11]
	s_mov_b32 s10, 0xa9225b87
	s_mov_b32 s11, 0x3e2d2c64
	v_fma_f64 v[22:23], v[14:15], v[18:19], -v[22:23]
	v_rndne_f64_e32 v[24:25], v[24:25]
	v_add_f64 v[22:23], v[22:23], s[10:11]
	s_mov_b32 s10, 0xfefa39ef
	s_mov_b32 s11, 0xbfe62e42
	v_fma_f64 v[26:27], v[24:25], s[10:11], v[16:17]
	s_mov_b32 s10, 0x3b39803f
	s_mov_b32 s11, 0xbc7abc9e
	v_cndmask_b32_e64 v16, 0, 0xffffff80, vcc_lo
	v_cmp_class_f64_e64 vcc_lo, v[30:31], 0x260
	v_fma_f64 v[18:19], v[14:15], v[22:23], -v[18:19]
	v_fma_f64 v[26:27], v[24:25], s[10:11], v[26:27]
	s_mov_b32 s10, 0x80d6d56d
	s_mov_b32 s11, 0x3e585692
	v_add_f64 v[18:19], v[18:19], s[10:11]
	s_mov_b32 s10, 0xfca7ab0c
	s_mov_b32 s11, 0x3e928af3
	v_fma_f64 v[28:29], v[26:27], s[12:13], s[10:11]
	s_mov_b32 s10, 0x623fde64
	s_mov_b32 s11, 0x3ec71dee
	v_fma_f64 v[22:23], v[14:15], v[18:19], -v[22:23]
	v_fma_f64 v[28:29], v[26:27], v[28:29], s[10:11]
	s_mov_b32 s10, 0xd9cd616e
	s_mov_b32 s11, 0x3e8b8007
	v_add_f64 v[22:23], v[22:23], s[10:11]
	s_mov_b32 s10, 0x7c89e6b0
	s_mov_b32 s11, 0x3efa0199
	v_fma_f64 v[28:29], v[26:27], v[28:29], s[10:11]
	s_mov_b32 s10, 0x14761f6e
	s_mov_b32 s11, 0x3f2a01a0
	v_fma_f64 v[18:19], v[14:15], v[22:23], -v[18:19]
	v_fma_f64 v[28:29], v[26:27], v[28:29], s[10:11]
	s_mov_b32 s10, 0xc101c586
	s_mov_b32 s11, 0x3ec8412b
	v_add_f64 v[18:19], v[18:19], s[10:11]
	s_mov_b32 s10, 0x1852b7b0
	s_mov_b32 s11, 0x3f56c16c
	v_fma_f64 v[28:29], v[26:27], v[28:29], s[10:11]
	s_mov_b32 s10, 0x11122322
	s_mov_b32 s11, 0x3f811111
	v_fma_f64 v[22:23], v[14:15], v[18:19], -v[22:23]
	v_fma_f64 v[28:29], v[26:27], v[28:29], s[10:11]
	s_mov_b32 s10, 0x78999e52
	s_mov_b32 s11, 0x3f120fa3
	v_add_f64 v[22:23], v[22:23], s[10:11]
	s_mov_b32 s10, 0x555502a1
	s_mov_b32 s11, 0x3fa55555
	v_fma_f64 v[28:29], v[26:27], v[28:29], s[10:11]
	s_mov_b32 s10, 0x55555511
	s_mov_b32 s11, 0x3fc55555
	v_fma_f64 v[18:19], v[14:15], v[22:23], -v[18:19]
	v_fma_f64 v[28:29], v[26:27], v[28:29], s[10:11]
	s_mov_b32 s10, 0xa2e59049
	s_mov_b32 s11, 0x3f6b998c
	v_add_f64 v[18:19], v[18:19], s[10:11]
	s_mov_b32 s10, 11
	s_mov_b32 s11, 0x3fe00000
	v_fma_f64 v[28:29], v[26:27], v[28:29], s[10:11]
	s_mov_b32 s10, 0xaca809cb
	s_mov_b32 s11, 0x3fe9be62
	v_fma_f64 v[14:15], v[14:15], v[18:19], -v[22:23]
	v_fma_f64 v[18:19], v[36:37], v[32:33], v[34:35]
	v_cvt_i32_f64_e32 v36, v[24:25]
	v_fma_f64 v[28:29], v[26:27], v[28:29], 1.0
	v_add_f64 v[14:15], v[14:15], s[10:11]
	v_fma_f64 v[34:35], -v[18:19], v[18:19], v[30:31]
	v_fma_f64 v[24:25], v[26:27], v[28:29], 1.0
	v_add_f64 v[14:15], v[14:15], -v[22:23]
	v_fma_f64 v[18:19], v[34:35], v[32:33], v[18:19]
	v_ldexp_f64 v[22:23], v[24:25], v36
	v_mul_f64 v[14:15], v[14:15], 0.5
	v_ldexp_f64 v[16:17], v[18:19], v16
	v_cndmask_b32_e64 v19, 0x7ff00000, v23, s5
	v_cndmask_b32_e64 v18, 0, v22, s5
	v_mul_f64 v[14:15], v[18:19], v[14:15]
	v_cndmask_b32_e32 v17, v17, v31, vcc_lo
	v_cndmask_b32_e32 v16, v16, v30, vcc_lo
	v_div_scale_f64 v[18:19], null, v[16:17], v[16:17], v[14:15]
	v_rcp_f64_e32 v[22:23], v[18:19]
	v_fma_f64 v[24:25], -v[18:19], v[22:23], 1.0
	v_fma_f64 v[22:23], v[22:23], v[24:25], v[22:23]
	v_fma_f64 v[24:25], -v[18:19], v[22:23], 1.0
	v_fma_f64 v[22:23], v[22:23], v[24:25], v[22:23]
	v_div_scale_f64 v[24:25], vcc_lo, v[14:15], v[16:17], v[14:15]
	v_mul_f64 v[26:27], v[24:25], v[22:23]
	v_fma_f64 v[18:19], -v[18:19], v[26:27], v[24:25]
	v_div_fmas_f64 v[18:19], v[18:19], v[22:23], v[26:27]
	v_div_fixup_f64 v[14:15], v[18:19], v[16:17], v[14:15]
.LBB0_19:
	s_or_b32 exec_lo, exec_lo, s8
.LBB0_20:
	s_or_b32 exec_lo, exec_lo, s7
	v_add_nc_u32_e32 v16, 0x200, v20
	s_mov_b32 s7, exec_lo
	v_cmpx_lt_i32_e64 v16, v4
	s_cbranch_execz .LBB0_26
; %bb.21:
	s_mov_b32 s5, exec_lo
	v_cmpx_ge_f64_e32 0x40200000, v[8:9]
	s_xor_b32 s5, exec_lo, s5
                                        ; implicit-def: $vgpr12_vgpr13
	s_cbranch_execz .LBB0_23
; %bb.22:
	v_fma_f64 v[12:13], v[8:9], 0.5, -2.0
	s_mov_b32 s8, 0x977da589
	s_mov_b32 s9, 0x3c833362
	;; [unrolled: 1-line block ×4, first 2 shown]
	v_fma_f64 v[16:17], v[12:13], s[10:11], s[8:9]
	s_mov_b32 s11, 0x3c545cb7
	s_mov_b32 s8, 0x721ebbb4
	;; [unrolled: 1-line block ×3, first 2 shown]
	v_fma_f64 v[18:19], v[12:13], v[16:17], s[10:11]
	s_mov_b32 s10, 0x3b39803f
	s_mov_b32 s11, 0xbc7abc9e
	v_add_f64 v[18:19], v[18:19], s[8:9]
	s_mov_b32 s8, 0x93f65eba
	s_mov_b32 s9, 0x3cdee6d8
	v_fma_f64 v[16:17], v[12:13], v[18:19], -v[16:17]
	v_add_f64 v[16:17], v[16:17], s[8:9]
	s_mov_b32 s8, 0xc297fbeb
	s_mov_b32 s9, 0xbd0a5022
	v_fma_f64 v[18:19], v[12:13], v[16:17], -v[18:19]
	;; [unrolled: 4-line block ×20, first 2 shown]
	v_add_f64 v[18:19], v[18:19], s[8:9]
	s_mov_b32 s8, 0x652b82fe
	s_mov_b32 s9, 0x3ff71547
	v_mul_f64 v[22:23], v[8:9], s[8:9]
	s_mov_b32 s8, 0xf3dde3dd
	s_mov_b32 s9, 0x3f859961
	v_fma_f64 v[16:17], v[12:13], v[18:19], -v[16:17]
	v_rndne_f64_e32 v[22:23], v[22:23]
	v_add_f64 v[16:17], v[16:17], s[8:9]
	s_mov_b32 s8, 0xfefa39ef
	s_mov_b32 s9, 0xbfe62e42
	v_fma_f64 v[8:9], v[22:23], s[8:9], v[8:9]
	s_mov_b32 s8, 0xf121b6f0
	s_mov_b32 s9, 0xbf984e9e
	v_fma_f64 v[18:19], v[12:13], v[16:17], -v[18:19]
	v_fma_f64 v[8:9], v[22:23], s[10:11], v[8:9]
	s_mov_b32 s10, 0x6a5dcb37
	s_mov_b32 s11, 0x3e5ade15
	v_add_f64 v[18:19], v[18:19], s[8:9]
	s_mov_b32 s8, 0xfca7ab0c
	s_mov_b32 s9, 0x3e928af3
	v_fma_f64 v[24:25], v[8:9], s[10:11], s[8:9]
	s_mov_b32 s8, 0xcea8a32d
	s_mov_b32 s10, 0x623fde64
	;; [unrolled: 1-line block ×4, first 2 shown]
	v_fma_f64 v[16:17], v[12:13], v[18:19], -v[16:17]
	v_fma_f64 v[24:25], v[8:9], v[24:25], s[10:11]
	s_mov_b32 s10, 0x14761f6e
	s_mov_b32 s11, 0x3f2a01a0
	v_add_f64 v[16:17], v[16:17], s[8:9]
	s_mov_b32 s8, 0x7c89e6b0
	s_mov_b32 s9, 0x3efa0199
	v_fma_f64 v[24:25], v[8:9], v[24:25], s[8:9]
	s_mov_b32 s8, 0x342d06ea
	s_mov_b32 s9, 0xbfb84b70
	v_fma_f64 v[18:19], v[12:13], v[16:17], -v[18:19]
	v_fma_f64 v[24:25], v[8:9], v[24:25], s[10:11]
	s_mov_b32 s10, 0x11122322
	s_mov_b32 s11, 0x3f811111
	v_add_f64 v[18:19], v[18:19], s[8:9]
	s_mov_b32 s8, 0x1852b7b0
	s_mov_b32 s9, 0x3f56c16c
	v_fma_f64 v[24:25], v[8:9], v[24:25], s[8:9]
	s_mov_b32 s8, 0x77ac88c0
	s_mov_b32 s9, 0x3fc5f7ac
	;; [unrolled: 10-line block ×3, first 2 shown]
	v_fma_f64 v[18:19], v[12:13], v[16:17], -v[18:19]
	v_fma_f64 v[24:25], v[8:9], v[24:25], s[10:11]
	v_add_f64 v[18:19], v[18:19], s[8:9]
	s_mov_b32 s8, 11
	s_mov_b32 s9, 0x3fe00000
	v_fma_f64 v[24:25], v[8:9], v[24:25], s[8:9]
	s_mov_b32 s8, 0x9035a22a
	s_mov_b32 s9, 0x3fe5a84e
	v_fma_f64 v[12:13], v[12:13], v[18:19], -v[16:17]
	v_fma_f64 v[18:19], v[8:9], v[24:25], 1.0
	v_add_f64 v[12:13], v[12:13], s[8:9]
	v_fma_f64 v[8:9], v[8:9], v[18:19], 1.0
	v_cvt_i32_f64_e32 v18, v[22:23]
	v_add_f64 v[12:13], v[12:13], -v[16:17]
	v_ldexp_f64 v[8:9], v[8:9], v18
	v_mul_f64 v[12:13], v[12:13], 0.5
	v_mul_f64 v[12:13], v[8:9], v[12:13]
                                        ; implicit-def: $vgpr8_vgpr9
.LBB0_23:
	s_andn2_saveexec_b32 s8, s5
	s_cbranch_execz .LBB0_25
; %bb.24:
	v_div_scale_f64 v[12:13], null, v[8:9], v[8:9], 0x40400000
	v_div_scale_f64 v[22:23], vcc_lo, 0x40400000, v[8:9], 0x40400000
	s_mov_b32 s10, 0x66119130
	s_mov_b32 s11, 0xbc5646da
	;; [unrolled: 1-line block ×4, first 2 shown]
	v_cmp_nlt_f64_e64 s5, 0x40900000, v[8:9]
	v_rcp_f64_e32 v[16:17], v[12:13]
	v_fma_f64 v[18:19], -v[12:13], v[16:17], 1.0
	v_fma_f64 v[16:17], v[16:17], v[18:19], v[16:17]
	v_fma_f64 v[18:19], -v[12:13], v[16:17], 1.0
	v_fma_f64 v[16:17], v[16:17], v[18:19], v[16:17]
	v_mul_f64 v[18:19], v[22:23], v[16:17]
	v_fma_f64 v[12:13], -v[12:13], v[18:19], v[22:23]
	v_div_fmas_f64 v[12:13], v[12:13], v[16:17], v[18:19]
	v_cmp_gt_f64_e32 vcc_lo, 0x10000000, v[8:9]
	v_div_fixup_f64 v[12:13], v[12:13], v[8:9], 0x40400000
	v_cndmask_b32_e64 v28, 0, 0x100, vcc_lo
	v_ldexp_f64 v[28:29], v[8:9], v28
	v_add_f64 v[12:13], v[12:13], -2.0
	v_rsq_f64_e32 v[30:31], v[28:29]
	v_fma_f64 v[16:17], v[12:13], s[12:13], s[10:11]
	s_mov_b32 s13, 0x3c60adb7
	s_mov_b32 s10, 0x12d98421
	;; [unrolled: 1-line block ×3, first 2 shown]
	v_mul_f64 v[32:33], v[28:29], v[30:31]
	v_mul_f64 v[30:31], v[30:31], 0.5
	v_fma_f64 v[18:19], v[12:13], v[16:17], s[12:13]
	s_mov_b32 s12, 0x6a5dcb37
	s_mov_b32 s13, 0x3e5ade15
	v_fma_f64 v[34:35], -v[30:31], v[32:33], 0.5
	v_add_f64 v[18:19], v[18:19], s[10:11]
	s_mov_b32 s10, 0x76041cd
	s_mov_b32 s11, 0x3c83f3dd
	v_fma_f64 v[32:33], v[32:33], v[34:35], v[32:33]
	v_fma_f64 v[30:31], v[30:31], v[34:35], v[30:31]
	v_fma_f64 v[16:17], v[12:13], v[18:19], -v[16:17]
	v_fma_f64 v[34:35], -v[32:33], v[32:33], v[28:29]
	v_add_f64 v[16:17], v[16:17], s[10:11]
	s_mov_b32 s10, 0xabd21fe4
	s_mov_b32 s11, 0xbcb4600b
	v_fma_f64 v[18:19], v[12:13], v[16:17], -v[18:19]
	v_add_f64 v[18:19], v[18:19], s[10:11]
	s_mov_b32 s10, 0xd908de38
	s_mov_b32 s11, 0xbcb8aee7
	v_fma_f64 v[16:17], v[12:13], v[18:19], -v[16:17]
	;; [unrolled: 4-line block ×14, first 2 shown]
	v_add_f64 v[16:17], v[16:17], s[10:11]
	s_mov_b32 s10, 0x652b82fe
	s_mov_b32 s11, 0x3ff71547
	v_mul_f64 v[22:23], v[8:9], s[10:11]
	s_mov_b32 s10, 0xa9225b87
	s_mov_b32 s11, 0x3e2d2c64
	v_fma_f64 v[18:19], v[12:13], v[16:17], -v[18:19]
	v_rndne_f64_e32 v[22:23], v[22:23]
	v_add_f64 v[18:19], v[18:19], s[10:11]
	s_mov_b32 s10, 0xfefa39ef
	s_mov_b32 s11, 0xbfe62e42
	v_fma_f64 v[24:25], v[22:23], s[10:11], v[8:9]
	s_mov_b32 s10, 0x3b39803f
	s_mov_b32 s11, 0xbc7abc9e
	v_fma_f64 v[16:17], v[12:13], v[18:19], -v[16:17]
	v_fma_f64 v[24:25], v[22:23], s[10:11], v[24:25]
	s_mov_b32 s10, 0x80d6d56d
	s_mov_b32 s11, 0x3e585692
	v_add_f64 v[16:17], v[16:17], s[10:11]
	s_mov_b32 s10, 0xfca7ab0c
	s_mov_b32 s11, 0x3e928af3
	v_fma_f64 v[26:27], v[24:25], s[12:13], s[10:11]
	s_mov_b32 s10, 0x623fde64
	s_mov_b32 s11, 0x3ec71dee
	v_fma_f64 v[18:19], v[12:13], v[16:17], -v[18:19]
	v_fma_f64 v[26:27], v[24:25], v[26:27], s[10:11]
	s_mov_b32 s10, 0xd9cd616e
	s_mov_b32 s11, 0x3e8b8007
	;; [unrolled: 10-line block ×5, first 2 shown]
	v_add_f64 v[16:17], v[16:17], s[10:11]
	s_mov_b32 s10, 11
	s_mov_b32 s11, 0x3fe00000
	v_fma_f64 v[26:27], v[24:25], v[26:27], s[10:11]
	s_mov_b32 s10, 0xaca809cb
	s_mov_b32 s11, 0x3fe9be62
	v_fma_f64 v[12:13], v[12:13], v[16:17], -v[18:19]
	v_fma_f64 v[16:17], v[34:35], v[30:31], v[32:33]
	v_cvt_i32_f64_e32 v34, v[22:23]
	v_fma_f64 v[26:27], v[24:25], v[26:27], 1.0
	v_add_f64 v[12:13], v[12:13], s[10:11]
	v_fma_f64 v[32:33], -v[16:17], v[16:17], v[28:29]
	v_fma_f64 v[22:23], v[24:25], v[26:27], 1.0
	v_add_f64 v[12:13], v[12:13], -v[18:19]
	v_fma_f64 v[16:17], v[32:33], v[30:31], v[16:17]
	v_ldexp_f64 v[18:19], v[22:23], v34
	v_mul_f64 v[8:9], v[12:13], 0.5
	v_cndmask_b32_e64 v12, 0, 0xffffff80, vcc_lo
	v_cmp_class_f64_e64 vcc_lo, v[28:29], 0x260
	v_ldexp_f64 v[12:13], v[16:17], v12
	v_cndmask_b32_e64 v17, 0x7ff00000, v19, s5
	v_cndmask_b32_e64 v16, 0, v18, s5
	v_mul_f64 v[8:9], v[16:17], v[8:9]
	v_cndmask_b32_e32 v13, v13, v29, vcc_lo
	v_cndmask_b32_e32 v12, v12, v28, vcc_lo
	v_div_scale_f64 v[16:17], null, v[12:13], v[12:13], v[8:9]
	v_rcp_f64_e32 v[18:19], v[16:17]
	v_fma_f64 v[22:23], -v[16:17], v[18:19], 1.0
	v_fma_f64 v[18:19], v[18:19], v[22:23], v[18:19]
	v_fma_f64 v[22:23], -v[16:17], v[18:19], 1.0
	v_fma_f64 v[18:19], v[18:19], v[22:23], v[18:19]
	v_div_scale_f64 v[22:23], vcc_lo, v[8:9], v[12:13], v[8:9]
	v_mul_f64 v[24:25], v[22:23], v[18:19]
	v_fma_f64 v[16:17], -v[16:17], v[24:25], v[22:23]
	v_div_fmas_f64 v[16:17], v[16:17], v[18:19], v[24:25]
	v_div_fixup_f64 v[12:13], v[16:17], v[12:13], v[8:9]
.LBB0_25:
	s_or_b32 exec_lo, exec_lo, s8
.LBB0_26:
	s_or_b32 exec_lo, exec_lo, s7
	v_add_nc_u32_e32 v8, 0x300, v20
	s_mov_b32 s7, exec_lo
	v_cmpx_lt_i32_e64 v8, v4
	s_cbranch_execnz .LBB0_32
; %bb.27:
	s_or_b32 exec_lo, exec_lo, s7
	s_and_saveexec_b32 s5, s4
	s_xor_b32 s4, exec_lo, s5
	s_cbranch_execnz .LBB0_37
.LBB0_28:
	s_or_b32 exec_lo, exec_lo, s4
	s_mov_b32 s4, exec_lo
	v_cmpx_lt_i32_e64 v20, v4
	s_cbranch_execnz .LBB0_38
.LBB0_29:
	s_or_b32 exec_lo, exec_lo, s4
	s_mov_b32 s4, exec_lo
	v_cmpx_lt_i32_e64 v20, v4
	s_cbranch_execnz .LBB0_39
.LBB0_30:
	s_or_b32 exec_lo, exec_lo, s4
	s_mov_b32 s4, exec_lo
	v_cmpx_lt_i32_e64 v20, v4
	s_cbranch_execnz .LBB0_40
.LBB0_31:
	s_or_b32 exec_lo, exec_lo, s4
	s_waitcnt lgkmcnt(0)
	s_setpc_b64 s[30:31]
.LBB0_32:
	s_mov_b32 s5, exec_lo
	v_cmpx_ge_f64_e32 0x40200000, v[6:7]
	s_xor_b32 s5, exec_lo, s5
                                        ; implicit-def: $vgpr10_vgpr11
	s_cbranch_execz .LBB0_34
; %bb.33:
	v_fma_f64 v[8:9], v[6:7], 0.5, -2.0
	s_mov_b32 s8, 0x977da589
	s_mov_b32 s9, 0x3c833362
	;; [unrolled: 1-line block ×4, first 2 shown]
	v_fma_f64 v[10:11], v[8:9], s[10:11], s[8:9]
	s_mov_b32 s11, 0x3c545cb7
	s_mov_b32 s8, 0x721ebbb4
	;; [unrolled: 1-line block ×3, first 2 shown]
	v_fma_f64 v[16:17], v[8:9], v[10:11], s[10:11]
	s_mov_b32 s10, 0x3b39803f
	s_mov_b32 s11, 0xbc7abc9e
	v_add_f64 v[16:17], v[16:17], s[8:9]
	s_mov_b32 s8, 0x93f65eba
	s_mov_b32 s9, 0x3cdee6d8
	v_fma_f64 v[10:11], v[8:9], v[16:17], -v[10:11]
	v_add_f64 v[10:11], v[10:11], s[8:9]
	s_mov_b32 s8, 0xc297fbeb
	s_mov_b32 s9, 0xbd0a5022
	v_fma_f64 v[16:17], v[8:9], v[10:11], -v[16:17]
	;; [unrolled: 4-line block ×20, first 2 shown]
	v_add_f64 v[16:17], v[16:17], s[8:9]
	s_mov_b32 s8, 0x652b82fe
	s_mov_b32 s9, 0x3ff71547
	v_mul_f64 v[18:19], v[6:7], s[8:9]
	s_mov_b32 s8, 0xf3dde3dd
	s_mov_b32 s9, 0x3f859961
	v_fma_f64 v[10:11], v[8:9], v[16:17], -v[10:11]
	v_rndne_f64_e32 v[18:19], v[18:19]
	v_add_f64 v[10:11], v[10:11], s[8:9]
	s_mov_b32 s8, 0xfefa39ef
	s_mov_b32 s9, 0xbfe62e42
	v_fma_f64 v[6:7], v[18:19], s[8:9], v[6:7]
	s_mov_b32 s8, 0xf121b6f0
	s_mov_b32 s9, 0xbf984e9e
	v_fma_f64 v[16:17], v[8:9], v[10:11], -v[16:17]
	v_fma_f64 v[6:7], v[18:19], s[10:11], v[6:7]
	s_mov_b32 s10, 0x6a5dcb37
	s_mov_b32 s11, 0x3e5ade15
	v_add_f64 v[16:17], v[16:17], s[8:9]
	s_mov_b32 s8, 0xfca7ab0c
	s_mov_b32 s9, 0x3e928af3
	v_fma_f64 v[22:23], v[6:7], s[10:11], s[8:9]
	s_mov_b32 s8, 0xcea8a32d
	s_mov_b32 s10, 0x623fde64
	;; [unrolled: 1-line block ×4, first 2 shown]
	v_fma_f64 v[10:11], v[8:9], v[16:17], -v[10:11]
	v_fma_f64 v[22:23], v[6:7], v[22:23], s[10:11]
	s_mov_b32 s10, 0x14761f6e
	s_mov_b32 s11, 0x3f2a01a0
	v_add_f64 v[10:11], v[10:11], s[8:9]
	s_mov_b32 s8, 0x7c89e6b0
	s_mov_b32 s9, 0x3efa0199
	v_fma_f64 v[22:23], v[6:7], v[22:23], s[8:9]
	s_mov_b32 s8, 0x342d06ea
	s_mov_b32 s9, 0xbfb84b70
	v_fma_f64 v[16:17], v[8:9], v[10:11], -v[16:17]
	v_fma_f64 v[22:23], v[6:7], v[22:23], s[10:11]
	s_mov_b32 s10, 0x11122322
	s_mov_b32 s11, 0x3f811111
	v_add_f64 v[16:17], v[16:17], s[8:9]
	s_mov_b32 s8, 0x1852b7b0
	s_mov_b32 s9, 0x3f56c16c
	v_fma_f64 v[22:23], v[6:7], v[22:23], s[8:9]
	s_mov_b32 s8, 0x77ac88c0
	s_mov_b32 s9, 0x3fc5f7ac
	;; [unrolled: 10-line block ×3, first 2 shown]
	v_fma_f64 v[16:17], v[8:9], v[10:11], -v[16:17]
	v_fma_f64 v[22:23], v[6:7], v[22:23], s[10:11]
	v_add_f64 v[16:17], v[16:17], s[8:9]
	s_mov_b32 s8, 11
	s_mov_b32 s9, 0x3fe00000
	v_fma_f64 v[22:23], v[6:7], v[22:23], s[8:9]
	s_mov_b32 s8, 0x9035a22a
	s_mov_b32 s9, 0x3fe5a84e
	v_fma_f64 v[8:9], v[8:9], v[16:17], -v[10:11]
	v_fma_f64 v[16:17], v[6:7], v[22:23], 1.0
	v_add_f64 v[8:9], v[8:9], s[8:9]
	v_fma_f64 v[6:7], v[6:7], v[16:17], 1.0
	v_cvt_i32_f64_e32 v16, v[18:19]
	v_add_f64 v[8:9], v[8:9], -v[10:11]
	v_ldexp_f64 v[6:7], v[6:7], v16
	v_mul_f64 v[8:9], v[8:9], 0.5
	v_mul_f64 v[10:11], v[6:7], v[8:9]
                                        ; implicit-def: $vgpr6_vgpr7
.LBB0_34:
	s_andn2_saveexec_b32 s8, s5
	s_cbranch_execz .LBB0_36
; %bb.35:
	v_div_scale_f64 v[8:9], null, v[6:7], v[6:7], 0x40400000
	v_div_scale_f64 v[18:19], vcc_lo, 0x40400000, v[6:7], 0x40400000
	s_mov_b32 s10, 0x66119130
	s_mov_b32 s11, 0xbc5646da
	;; [unrolled: 1-line block ×4, first 2 shown]
	v_cmp_nlt_f64_e64 s5, 0x40900000, v[6:7]
	v_rcp_f64_e32 v[10:11], v[8:9]
	v_fma_f64 v[16:17], -v[8:9], v[10:11], 1.0
	v_fma_f64 v[10:11], v[10:11], v[16:17], v[10:11]
	v_fma_f64 v[16:17], -v[8:9], v[10:11], 1.0
	v_fma_f64 v[10:11], v[10:11], v[16:17], v[10:11]
	v_mul_f64 v[16:17], v[18:19], v[10:11]
	v_fma_f64 v[8:9], -v[8:9], v[16:17], v[18:19]
	v_div_fmas_f64 v[8:9], v[8:9], v[10:11], v[16:17]
	v_cmp_gt_f64_e32 vcc_lo, 0x10000000, v[6:7]
	v_div_fixup_f64 v[8:9], v[8:9], v[6:7], 0x40400000
	v_cndmask_b32_e64 v26, 0, 0x100, vcc_lo
	v_ldexp_f64 v[26:27], v[6:7], v26
	v_add_f64 v[8:9], v[8:9], -2.0
	v_rsq_f64_e32 v[28:29], v[26:27]
	v_fma_f64 v[10:11], v[8:9], s[12:13], s[10:11]
	s_mov_b32 s13, 0x3c60adb7
	s_mov_b32 s10, 0x12d98421
	;; [unrolled: 1-line block ×3, first 2 shown]
	v_mul_f64 v[30:31], v[26:27], v[28:29]
	v_mul_f64 v[28:29], v[28:29], 0.5
	v_fma_f64 v[16:17], v[8:9], v[10:11], s[12:13]
	s_mov_b32 s12, 0x6a5dcb37
	s_mov_b32 s13, 0x3e5ade15
	v_fma_f64 v[32:33], -v[28:29], v[30:31], 0.5
	v_add_f64 v[16:17], v[16:17], s[10:11]
	s_mov_b32 s10, 0x76041cd
	s_mov_b32 s11, 0x3c83f3dd
	v_fma_f64 v[30:31], v[30:31], v[32:33], v[30:31]
	v_fma_f64 v[28:29], v[28:29], v[32:33], v[28:29]
	v_fma_f64 v[10:11], v[8:9], v[16:17], -v[10:11]
	v_fma_f64 v[32:33], -v[30:31], v[30:31], v[26:27]
	v_add_f64 v[10:11], v[10:11], s[10:11]
	s_mov_b32 s10, 0xabd21fe4
	s_mov_b32 s11, 0xbcb4600b
	v_fma_f64 v[16:17], v[8:9], v[10:11], -v[16:17]
	v_add_f64 v[16:17], v[16:17], s[10:11]
	s_mov_b32 s10, 0xd908de38
	s_mov_b32 s11, 0xbcb8aee7
	v_fma_f64 v[10:11], v[8:9], v[16:17], -v[10:11]
	;; [unrolled: 4-line block ×14, first 2 shown]
	v_add_f64 v[10:11], v[10:11], s[10:11]
	s_mov_b32 s10, 0x652b82fe
	s_mov_b32 s11, 0x3ff71547
	v_mul_f64 v[18:19], v[6:7], s[10:11]
	s_mov_b32 s10, 0xa9225b87
	s_mov_b32 s11, 0x3e2d2c64
	v_fma_f64 v[16:17], v[8:9], v[10:11], -v[16:17]
	v_rndne_f64_e32 v[18:19], v[18:19]
	v_add_f64 v[16:17], v[16:17], s[10:11]
	s_mov_b32 s10, 0xfefa39ef
	s_mov_b32 s11, 0xbfe62e42
	v_fma_f64 v[22:23], v[18:19], s[10:11], v[6:7]
	s_mov_b32 s10, 0x3b39803f
	s_mov_b32 s11, 0xbc7abc9e
	v_fma_f64 v[10:11], v[8:9], v[16:17], -v[10:11]
	v_fma_f64 v[22:23], v[18:19], s[10:11], v[22:23]
	s_mov_b32 s10, 0x80d6d56d
	s_mov_b32 s11, 0x3e585692
	v_add_f64 v[10:11], v[10:11], s[10:11]
	s_mov_b32 s10, 0xfca7ab0c
	s_mov_b32 s11, 0x3e928af3
	v_fma_f64 v[24:25], v[22:23], s[12:13], s[10:11]
	s_mov_b32 s10, 0x623fde64
	s_mov_b32 s11, 0x3ec71dee
	v_fma_f64 v[16:17], v[8:9], v[10:11], -v[16:17]
	v_fma_f64 v[24:25], v[22:23], v[24:25], s[10:11]
	s_mov_b32 s10, 0xd9cd616e
	s_mov_b32 s11, 0x3e8b8007
	;; [unrolled: 10-line block ×5, first 2 shown]
	v_add_f64 v[10:11], v[10:11], s[10:11]
	s_mov_b32 s10, 11
	s_mov_b32 s11, 0x3fe00000
	v_fma_f64 v[24:25], v[22:23], v[24:25], s[10:11]
	s_mov_b32 s10, 0xaca809cb
	s_mov_b32 s11, 0x3fe9be62
	v_fma_f64 v[8:9], v[8:9], v[10:11], -v[16:17]
	v_fma_f64 v[10:11], v[32:33], v[28:29], v[30:31]
	v_cvt_i32_f64_e32 v32, v[18:19]
	v_fma_f64 v[24:25], v[22:23], v[24:25], 1.0
	v_add_f64 v[8:9], v[8:9], s[10:11]
	v_fma_f64 v[30:31], -v[10:11], v[10:11], v[26:27]
	v_fma_f64 v[18:19], v[22:23], v[24:25], 1.0
	v_add_f64 v[8:9], v[8:9], -v[16:17]
	v_fma_f64 v[10:11], v[30:31], v[28:29], v[10:11]
	v_ldexp_f64 v[16:17], v[18:19], v32
	v_mul_f64 v[6:7], v[8:9], 0.5
	v_cndmask_b32_e64 v8, 0, 0xffffff80, vcc_lo
	v_cmp_class_f64_e64 vcc_lo, v[26:27], 0x260
	v_ldexp_f64 v[8:9], v[10:11], v8
	v_cndmask_b32_e64 v11, 0x7ff00000, v17, s5
	v_cndmask_b32_e64 v10, 0, v16, s5
	v_mul_f64 v[6:7], v[10:11], v[6:7]
	v_cndmask_b32_e32 v9, v9, v27, vcc_lo
	v_cndmask_b32_e32 v8, v8, v26, vcc_lo
	v_div_scale_f64 v[10:11], null, v[8:9], v[8:9], v[6:7]
	v_rcp_f64_e32 v[16:17], v[10:11]
	v_fma_f64 v[18:19], -v[10:11], v[16:17], 1.0
	v_fma_f64 v[16:17], v[16:17], v[18:19], v[16:17]
	v_fma_f64 v[18:19], -v[10:11], v[16:17], 1.0
	v_fma_f64 v[16:17], v[16:17], v[18:19], v[16:17]
	v_div_scale_f64 v[18:19], vcc_lo, v[6:7], v[8:9], v[6:7]
	v_mul_f64 v[22:23], v[18:19], v[16:17]
	v_fma_f64 v[10:11], -v[10:11], v[22:23], v[18:19]
	v_div_fmas_f64 v[10:11], v[10:11], v[16:17], v[22:23]
	v_div_fixup_f64 v[10:11], v[10:11], v[8:9], v[6:7]
.LBB0_36:
	s_or_b32 exec_lo, exec_lo, s8
	s_or_b32 exec_lo, exec_lo, s7
	s_and_saveexec_b32 s5, s4
	s_xor_b32 s4, exec_lo, s5
	s_cbranch_execz .LBB0_28
.LBB0_37:
	v_mov_b32_e32 v6, 0
	v_mov_b32_e32 v20, v21
	v_lshlrev_b64 v[5:6], 3, v[5:6]
	v_add_co_u32 v5, vcc_lo, v0, v5
	v_add_co_ci_u32_e64 v6, null, v1, v6, vcc_lo
	flat_store_dwordx2 v[5:6], v[2:3]
	s_or_b32 exec_lo, exec_lo, s4
	s_mov_b32 s4, exec_lo
	v_cmpx_lt_i32_e64 v20, v4
	s_cbranch_execz .LBB0_29
.LBB0_38:
	v_add_nc_u32_e32 v2, s6, v20
	v_mov_b32_e32 v3, 0
	v_add_nc_u32_e32 v20, 0x100, v20
	v_lshlrev_b64 v[2:3], 3, v[2:3]
	v_add_co_u32 v2, vcc_lo, v0, v2
	v_add_co_ci_u32_e64 v3, null, v1, v3, vcc_lo
	flat_store_dwordx2 v[2:3], v[14:15]
	s_or_b32 exec_lo, exec_lo, s4
	s_mov_b32 s4, exec_lo
	v_cmpx_lt_i32_e64 v20, v4
	s_cbranch_execz .LBB0_30
.LBB0_39:
	v_add_nc_u32_e32 v2, s6, v20
	v_mov_b32_e32 v3, 0
	v_add_nc_u32_e32 v20, 0x100, v20
	v_lshlrev_b64 v[2:3], 3, v[2:3]
	v_add_co_u32 v2, vcc_lo, v0, v2
	v_add_co_ci_u32_e64 v3, null, v1, v3, vcc_lo
	flat_store_dwordx2 v[2:3], v[12:13]
	s_or_b32 exec_lo, exec_lo, s4
	s_mov_b32 s4, exec_lo
	v_cmpx_lt_i32_e64 v20, v4
	s_cbranch_execz .LBB0_31
.LBB0_40:
	v_add_nc_u32_e32 v2, s6, v20
	v_mov_b32_e32 v3, 0
	v_lshlrev_b64 v[2:3], 3, v[2:3]
	v_add_co_u32 v0, vcc_lo, v0, v2
	v_add_co_ci_u32_e64 v1, null, v1, v3, vcc_lo
	flat_store_dwordx2 v[0:1], v[10:11]
	s_or_b32 exec_lo, exec_lo, s4
	s_waitcnt lgkmcnt(0)
	s_setpc_b64 s[30:31]
.Lfunc_end0:
	.size	_ZN2at6native25elementwise_kernel_helperILb0EZZZNS0_12_GLOBAL__N_130modified_bessel_i0_kernel_cudaERNS_18TensorIteratorBaseEENKUlvE_clEvENKUlvE_clEvEUldE_NS0_6memory8policies11unroll_baseILi256ESt5arrayIPcLm2EE23TrivialOffsetCalculatorILi1EjESF_NS8_15LoadWithoutCastENS8_16StoreWithoutCastELi4ELi1EEEEEvT0_T1_, .Lfunc_end0-_ZN2at6native25elementwise_kernel_helperILb0EZZZNS0_12_GLOBAL__N_130modified_bessel_i0_kernel_cudaERNS_18TensorIteratorBaseEENKUlvE_clEvENKUlvE_clEvEUldE_NS0_6memory8policies11unroll_baseILi256ESt5arrayIPcLm2EE23TrivialOffsetCalculatorILi1EjESF_NS8_15LoadWithoutCastENS8_16StoreWithoutCastELi4ELi1EEEEEvT0_T1_
                                        ; -- End function
	.set .L_ZN2at6native25elementwise_kernel_helperILb0EZZZNS0_12_GLOBAL__N_130modified_bessel_i0_kernel_cudaERNS_18TensorIteratorBaseEENKUlvE_clEvENKUlvE_clEvEUldE_NS0_6memory8policies11unroll_baseILi256ESt5arrayIPcLm2EE23TrivialOffsetCalculatorILi1EjESF_NS8_15LoadWithoutCastENS8_16StoreWithoutCastELi4ELi1EEEEEvT0_T1_.num_vgpr, 38
	.set .L_ZN2at6native25elementwise_kernel_helperILb0EZZZNS0_12_GLOBAL__N_130modified_bessel_i0_kernel_cudaERNS_18TensorIteratorBaseEENKUlvE_clEvENKUlvE_clEvEUldE_NS0_6memory8policies11unroll_baseILi256ESt5arrayIPcLm2EE23TrivialOffsetCalculatorILi1EjESF_NS8_15LoadWithoutCastENS8_16StoreWithoutCastELi4ELi1EEEEEvT0_T1_.num_agpr, 0
	.set .L_ZN2at6native25elementwise_kernel_helperILb0EZZZNS0_12_GLOBAL__N_130modified_bessel_i0_kernel_cudaERNS_18TensorIteratorBaseEENKUlvE_clEvENKUlvE_clEvEUldE_NS0_6memory8policies11unroll_baseILi256ESt5arrayIPcLm2EE23TrivialOffsetCalculatorILi1EjESF_NS8_15LoadWithoutCastENS8_16StoreWithoutCastELi4ELi1EEEEEvT0_T1_.numbered_sgpr, 32
	.set .L_ZN2at6native25elementwise_kernel_helperILb0EZZZNS0_12_GLOBAL__N_130modified_bessel_i0_kernel_cudaERNS_18TensorIteratorBaseEENKUlvE_clEvENKUlvE_clEvEUldE_NS0_6memory8policies11unroll_baseILi256ESt5arrayIPcLm2EE23TrivialOffsetCalculatorILi1EjESF_NS8_15LoadWithoutCastENS8_16StoreWithoutCastELi4ELi1EEEEEvT0_T1_.num_named_barrier, 0
	.set .L_ZN2at6native25elementwise_kernel_helperILb0EZZZNS0_12_GLOBAL__N_130modified_bessel_i0_kernel_cudaERNS_18TensorIteratorBaseEENKUlvE_clEvENKUlvE_clEvEUldE_NS0_6memory8policies11unroll_baseILi256ESt5arrayIPcLm2EE23TrivialOffsetCalculatorILi1EjESF_NS8_15LoadWithoutCastENS8_16StoreWithoutCastELi4ELi1EEEEEvT0_T1_.private_seg_size, 0
	.set .L_ZN2at6native25elementwise_kernel_helperILb0EZZZNS0_12_GLOBAL__N_130modified_bessel_i0_kernel_cudaERNS_18TensorIteratorBaseEENKUlvE_clEvENKUlvE_clEvEUldE_NS0_6memory8policies11unroll_baseILi256ESt5arrayIPcLm2EE23TrivialOffsetCalculatorILi1EjESF_NS8_15LoadWithoutCastENS8_16StoreWithoutCastELi4ELi1EEEEEvT0_T1_.uses_vcc, 1
	.set .L_ZN2at6native25elementwise_kernel_helperILb0EZZZNS0_12_GLOBAL__N_130modified_bessel_i0_kernel_cudaERNS_18TensorIteratorBaseEENKUlvE_clEvENKUlvE_clEvEUldE_NS0_6memory8policies11unroll_baseILi256ESt5arrayIPcLm2EE23TrivialOffsetCalculatorILi1EjESF_NS8_15LoadWithoutCastENS8_16StoreWithoutCastELi4ELi1EEEEEvT0_T1_.uses_flat_scratch, 0
	.set .L_ZN2at6native25elementwise_kernel_helperILb0EZZZNS0_12_GLOBAL__N_130modified_bessel_i0_kernel_cudaERNS_18TensorIteratorBaseEENKUlvE_clEvENKUlvE_clEvEUldE_NS0_6memory8policies11unroll_baseILi256ESt5arrayIPcLm2EE23TrivialOffsetCalculatorILi1EjESF_NS8_15LoadWithoutCastENS8_16StoreWithoutCastELi4ELi1EEEEEvT0_T1_.has_dyn_sized_stack, 0
	.set .L_ZN2at6native25elementwise_kernel_helperILb0EZZZNS0_12_GLOBAL__N_130modified_bessel_i0_kernel_cudaERNS_18TensorIteratorBaseEENKUlvE_clEvENKUlvE_clEvEUldE_NS0_6memory8policies11unroll_baseILi256ESt5arrayIPcLm2EE23TrivialOffsetCalculatorILi1EjESF_NS8_15LoadWithoutCastENS8_16StoreWithoutCastELi4ELi1EEEEEvT0_T1_.has_recursion, 0
	.set .L_ZN2at6native25elementwise_kernel_helperILb0EZZZNS0_12_GLOBAL__N_130modified_bessel_i0_kernel_cudaERNS_18TensorIteratorBaseEENKUlvE_clEvENKUlvE_clEvEUldE_NS0_6memory8policies11unroll_baseILi256ESt5arrayIPcLm2EE23TrivialOffsetCalculatorILi1EjESF_NS8_15LoadWithoutCastENS8_16StoreWithoutCastELi4ELi1EEEEEvT0_T1_.has_indirect_call, 0
	.section	.AMDGPU.csdata,"",@progbits
; Function info:
; codeLenInByte = 12240
; TotalNumSgprs: 34
; NumVgprs: 38
; ScratchSize: 0
; MemoryBound: 0
	.text
	.p2align	2                               ; -- Begin function _ZN2at6native25elementwise_kernel_helperILb0EZZZNS0_12_GLOBAL__N_130modified_bessel_i0_kernel_cudaERNS_18TensorIteratorBaseEENKUlvE_clEvENKUlvE_clEvEUldE_NS0_6memory8policies10vectorizedILi4ESt5arrayIPcLm2EELi4EEEEEvT0_T1_
	.type	_ZN2at6native25elementwise_kernel_helperILb0EZZZNS0_12_GLOBAL__N_130modified_bessel_i0_kernel_cudaERNS_18TensorIteratorBaseEENKUlvE_clEvENKUlvE_clEvEUldE_NS0_6memory8policies10vectorizedILi4ESt5arrayIPcLm2EELi4EEEEEvT0_T1_,@function
_ZN2at6native25elementwise_kernel_helperILb0EZZZNS0_12_GLOBAL__N_130modified_bessel_i0_kernel_cudaERNS_18TensorIteratorBaseEENKUlvE_clEvENKUlvE_clEvEUldE_NS0_6memory8policies10vectorizedILi4ESt5arrayIPcLm2EELi4EEEEEvT0_T1_: ; @_ZN2at6native25elementwise_kernel_helperILb0EZZZNS0_12_GLOBAL__N_130modified_bessel_i0_kernel_cudaERNS_18TensorIteratorBaseEENKUlvE_clEvENKUlvE_clEvEUldE_NS0_6memory8policies10vectorizedILi4ESt5arrayIPcLm2EELi4EEEEEvT0_T1_
; %bb.0:
	s_waitcnt vmcnt(0) expcnt(0) lgkmcnt(0)
	s_lshl_b32 s4, s12, 10
	v_and_b32_e32 v4, 0x3ff, v31
	s_ashr_i32 s5, s4, 31
                                        ; implicit-def: $vgpr6_vgpr7
	s_lshl_b64 s[6:7], s[4:5], 3
	v_lshlrev_b32_e32 v14, 5, v4
	v_add_co_u32 v2, vcc_lo, v2, s6
	v_add_co_ci_u32_e64 v3, null, s7, v3, vcc_lo
	v_add_co_u32 v2, vcc_lo, v2, v14
	v_add_co_ci_u32_e64 v3, null, 0, v3, vcc_lo
	s_clause 0x1
	flat_load_dwordx4 v[8:11], v[2:3]
	flat_load_dwordx4 v[2:5], v[2:3] offset:16
	s_waitcnt vmcnt(1) lgkmcnt(1)
	v_cmp_ge_f64_e64 s4, 0x40200000, |v[8:9]|
	s_and_saveexec_b32 s5, s4
	s_xor_b32 s4, exec_lo, s5
	s_cbranch_execz .LBB1_2
; %bb.1:
	v_fma_f64 v[6:7], |v[8:9]|, 0.5, -2.0
	s_mov_b32 s8, 0x977da589
	s_mov_b32 s9, 0x3c833362
	;; [unrolled: 1-line block ×4, first 2 shown]
	v_fma_f64 v[12:13], v[6:7], s[10:11], s[8:9]
	s_mov_b32 s11, 0x3c545cb7
	s_mov_b32 s8, 0x721ebbb4
	;; [unrolled: 1-line block ×3, first 2 shown]
	v_fma_f64 v[15:16], v[6:7], v[12:13], s[10:11]
	s_mov_b32 s10, 0x3b39803f
	s_mov_b32 s11, 0xbc7abc9e
	v_add_f64 v[15:16], v[15:16], s[8:9]
	s_mov_b32 s8, 0x93f65eba
	s_mov_b32 s9, 0x3cdee6d8
	v_fma_f64 v[12:13], v[6:7], v[15:16], -v[12:13]
	v_add_f64 v[12:13], v[12:13], s[8:9]
	s_mov_b32 s8, 0xc297fbeb
	s_mov_b32 s9, 0xbd0a5022
	v_fma_f64 v[15:16], v[6:7], v[12:13], -v[15:16]
	;; [unrolled: 4-line block ×20, first 2 shown]
	v_add_f64 v[15:16], v[15:16], s[8:9]
	s_mov_b32 s8, 0x652b82fe
	s_mov_b32 s9, 0x3ff71547
	v_mul_f64 v[17:18], |v[8:9]|, s[8:9]
	s_mov_b32 s8, 0xf3dde3dd
	s_mov_b32 s9, 0x3f859961
	v_fma_f64 v[12:13], v[6:7], v[15:16], -v[12:13]
	v_rndne_f64_e32 v[17:18], v[17:18]
	v_add_f64 v[12:13], v[12:13], s[8:9]
	s_mov_b32 s8, 0xfefa39ef
	s_mov_b32 s9, 0xbfe62e42
	v_fma_f64 v[8:9], v[17:18], s[8:9], |v[8:9]|
	s_mov_b32 s8, 0xf121b6f0
	s_mov_b32 s9, 0xbf984e9e
	v_fma_f64 v[15:16], v[6:7], v[12:13], -v[15:16]
	v_fma_f64 v[8:9], v[17:18], s[10:11], v[8:9]
	s_mov_b32 s10, 0x6a5dcb37
	s_mov_b32 s11, 0x3e5ade15
	v_add_f64 v[15:16], v[15:16], s[8:9]
	s_mov_b32 s8, 0xfca7ab0c
	s_mov_b32 s9, 0x3e928af3
	v_fma_f64 v[19:20], v[8:9], s[10:11], s[8:9]
	s_mov_b32 s8, 0xcea8a32d
	s_mov_b32 s10, 0x623fde64
	;; [unrolled: 1-line block ×4, first 2 shown]
	v_fma_f64 v[12:13], v[6:7], v[15:16], -v[12:13]
	v_fma_f64 v[19:20], v[8:9], v[19:20], s[10:11]
	s_mov_b32 s10, 0x14761f6e
	s_mov_b32 s11, 0x3f2a01a0
	v_add_f64 v[12:13], v[12:13], s[8:9]
	s_mov_b32 s8, 0x7c89e6b0
	s_mov_b32 s9, 0x3efa0199
	v_fma_f64 v[19:20], v[8:9], v[19:20], s[8:9]
	s_mov_b32 s8, 0x342d06ea
	s_mov_b32 s9, 0xbfb84b70
	v_fma_f64 v[15:16], v[6:7], v[12:13], -v[15:16]
	v_fma_f64 v[19:20], v[8:9], v[19:20], s[10:11]
	s_mov_b32 s10, 0x11122322
	s_mov_b32 s11, 0x3f811111
	v_add_f64 v[15:16], v[15:16], s[8:9]
	s_mov_b32 s8, 0x1852b7b0
	s_mov_b32 s9, 0x3f56c16c
	v_fma_f64 v[19:20], v[8:9], v[19:20], s[8:9]
	s_mov_b32 s8, 0x77ac88c0
	s_mov_b32 s9, 0x3fc5f7ac
	;; [unrolled: 10-line block ×3, first 2 shown]
	v_fma_f64 v[15:16], v[6:7], v[12:13], -v[15:16]
	v_fma_f64 v[19:20], v[8:9], v[19:20], s[10:11]
	v_add_f64 v[15:16], v[15:16], s[8:9]
	s_mov_b32 s8, 11
	s_mov_b32 s9, 0x3fe00000
	v_fma_f64 v[19:20], v[8:9], v[19:20], s[8:9]
	s_mov_b32 s8, 0x9035a22a
	s_mov_b32 s9, 0x3fe5a84e
	v_fma_f64 v[6:7], v[6:7], v[15:16], -v[12:13]
	v_fma_f64 v[15:16], v[8:9], v[19:20], 1.0
	v_add_f64 v[6:7], v[6:7], s[8:9]
	v_fma_f64 v[8:9], v[8:9], v[15:16], 1.0
	v_cvt_i32_f64_e32 v15, v[17:18]
	v_add_f64 v[6:7], v[6:7], -v[12:13]
	v_ldexp_f64 v[8:9], v[8:9], v15
	v_mul_f64 v[6:7], v[6:7], 0.5
	v_mul_f64 v[6:7], v[8:9], v[6:7]
.LBB1_2:
	s_andn2_saveexec_b32 s5, s4
	s_cbranch_execz .LBB1_4
; %bb.3:
	v_and_b32_e32 v7, 0x7fffffff, v9
	v_mov_b32_e32 v6, v8
	s_mov_b32 s8, 0x66119130
	s_mov_b32 s9, 0xbc5646da
	;; [unrolled: 1-line block ×4, first 2 shown]
	v_div_scale_f64 v[12:13], null, v[6:7], v[6:7], 0x40400000
	v_div_scale_f64 v[6:7], vcc_lo, 0x40400000, v[6:7], 0x40400000
	v_cmp_gt_f64_e64 s4, 0x10000000, |v[8:9]|
	v_rcp_f64_e32 v[15:16], v[12:13]
	v_cndmask_b32_e64 v23, 0, 0x100, s4
	v_ldexp_f64 v[23:24], |v[8:9]|, v23
	v_fma_f64 v[17:18], -v[12:13], v[15:16], 1.0
	v_rsq_f64_e32 v[25:26], v[23:24]
	v_fma_f64 v[15:16], v[15:16], v[17:18], v[15:16]
	v_mul_f64 v[27:28], v[23:24], v[25:26]
	v_mul_f64 v[25:26], v[25:26], 0.5
	v_fma_f64 v[17:18], -v[12:13], v[15:16], 1.0
	v_fma_f64 v[29:30], -v[25:26], v[27:28], 0.5
	v_fma_f64 v[15:16], v[15:16], v[17:18], v[15:16]
	v_fma_f64 v[27:28], v[27:28], v[29:30], v[27:28]
	;; [unrolled: 1-line block ×3, first 2 shown]
	v_mul_f64 v[17:18], v[6:7], v[15:16]
	v_fma_f64 v[29:30], -v[27:28], v[27:28], v[23:24]
	v_fma_f64 v[6:7], -v[12:13], v[17:18], v[6:7]
	v_div_fmas_f64 v[6:7], v[6:7], v[15:16], v[17:18]
	v_cmp_nlt_f64_e64 vcc_lo, 0x40900000, |v[8:9]|
	v_div_fixup_f64 v[6:7], v[6:7], |v[8:9]|, 0x40400000
	v_add_f64 v[6:7], v[6:7], -2.0
	v_fma_f64 v[12:13], v[6:7], s[10:11], s[8:9]
	s_mov_b32 s11, 0x3c60adb7
	s_mov_b32 s8, 0x12d98421
	;; [unrolled: 1-line block ×3, first 2 shown]
	v_fma_f64 v[15:16], v[6:7], v[12:13], s[10:11]
	s_mov_b32 s10, 0x6a5dcb37
	s_mov_b32 s11, 0x3e5ade15
	v_add_f64 v[15:16], v[15:16], s[8:9]
	s_mov_b32 s8, 0x76041cd
	s_mov_b32 s9, 0x3c83f3dd
	v_fma_f64 v[12:13], v[6:7], v[15:16], -v[12:13]
	v_add_f64 v[12:13], v[12:13], s[8:9]
	s_mov_b32 s8, 0xabd21fe4
	s_mov_b32 s9, 0xbcb4600b
	v_fma_f64 v[15:16], v[6:7], v[12:13], -v[15:16]
	;; [unrolled: 4-line block ×15, first 2 shown]
	v_add_f64 v[12:13], v[12:13], s[8:9]
	s_mov_b32 s8, 0x652b82fe
	s_mov_b32 s9, 0x3ff71547
	v_mul_f64 v[17:18], |v[8:9]|, s[8:9]
	s_mov_b32 s8, 0xa9225b87
	s_mov_b32 s9, 0x3e2d2c64
	v_fma_f64 v[15:16], v[6:7], v[12:13], -v[15:16]
	v_rndne_f64_e32 v[17:18], v[17:18]
	v_add_f64 v[15:16], v[15:16], s[8:9]
	s_mov_b32 s8, 0xfefa39ef
	s_mov_b32 s9, 0xbfe62e42
	v_fma_f64 v[19:20], v[17:18], s[8:9], |v[8:9]|
	s_mov_b32 s8, 0x3b39803f
	s_mov_b32 s9, 0xbc7abc9e
	v_cndmask_b32_e64 v8, 0, 0xffffff80, s4
	v_cmp_class_f64_e64 s4, v[23:24], 0x260
	v_fma_f64 v[12:13], v[6:7], v[15:16], -v[12:13]
	v_fma_f64 v[19:20], v[17:18], s[8:9], v[19:20]
	s_mov_b32 s8, 0x80d6d56d
	s_mov_b32 s9, 0x3e585692
	v_add_f64 v[12:13], v[12:13], s[8:9]
	s_mov_b32 s8, 0xfca7ab0c
	s_mov_b32 s9, 0x3e928af3
	v_fma_f64 v[21:22], v[19:20], s[10:11], s[8:9]
	s_mov_b32 s8, 0x623fde64
	s_mov_b32 s9, 0x3ec71dee
	v_fma_f64 v[15:16], v[6:7], v[12:13], -v[15:16]
	v_fma_f64 v[21:22], v[19:20], v[21:22], s[8:9]
	s_mov_b32 s8, 0xd9cd616e
	s_mov_b32 s9, 0x3e8b8007
	v_add_f64 v[15:16], v[15:16], s[8:9]
	s_mov_b32 s8, 0x7c89e6b0
	s_mov_b32 s9, 0x3efa0199
	v_fma_f64 v[21:22], v[19:20], v[21:22], s[8:9]
	s_mov_b32 s8, 0x14761f6e
	s_mov_b32 s9, 0x3f2a01a0
	;; [unrolled: 10-line block ×5, first 2 shown]
	v_fma_f64 v[6:7], v[6:7], v[12:13], -v[15:16]
	v_fma_f64 v[12:13], v[29:30], v[25:26], v[27:28]
	v_cvt_i32_f64_e32 v29, v[17:18]
	v_fma_f64 v[21:22], v[19:20], v[21:22], 1.0
	v_add_f64 v[6:7], v[6:7], s[8:9]
	v_fma_f64 v[27:28], -v[12:13], v[12:13], v[23:24]
	v_fma_f64 v[17:18], v[19:20], v[21:22], 1.0
	v_add_f64 v[6:7], v[6:7], -v[15:16]
	v_fma_f64 v[12:13], v[27:28], v[25:26], v[12:13]
	v_ldexp_f64 v[15:16], v[17:18], v29
	v_mul_f64 v[6:7], v[6:7], 0.5
	v_ldexp_f64 v[8:9], v[12:13], v8
	v_cndmask_b32_e32 v13, 0x7ff00000, v16, vcc_lo
	v_cndmask_b32_e32 v12, 0, v15, vcc_lo
	v_mul_f64 v[6:7], v[12:13], v[6:7]
	v_cndmask_b32_e64 v9, v9, v24, s4
	v_cndmask_b32_e64 v8, v8, v23, s4
	v_div_scale_f64 v[12:13], null, v[8:9], v[8:9], v[6:7]
	v_rcp_f64_e32 v[15:16], v[12:13]
	v_fma_f64 v[17:18], -v[12:13], v[15:16], 1.0
	v_fma_f64 v[15:16], v[15:16], v[17:18], v[15:16]
	v_fma_f64 v[17:18], -v[12:13], v[15:16], 1.0
	v_fma_f64 v[15:16], v[15:16], v[17:18], v[15:16]
	v_div_scale_f64 v[17:18], vcc_lo, v[6:7], v[8:9], v[6:7]
	v_mul_f64 v[19:20], v[17:18], v[15:16]
	v_fma_f64 v[12:13], -v[12:13], v[19:20], v[17:18]
	v_div_fmas_f64 v[12:13], v[12:13], v[15:16], v[19:20]
	v_div_fixup_f64 v[6:7], v[12:13], v[8:9], v[6:7]
.LBB1_4:
	s_or_b32 exec_lo, exec_lo, s5
	v_cmp_ge_f64_e64 s4, 0x40200000, |v[10:11]|
	s_and_saveexec_b32 s5, s4
	s_xor_b32 s4, exec_lo, s5
	s_cbranch_execz .LBB1_6
; %bb.5:
	v_fma_f64 v[8:9], |v[10:11]|, 0.5, -2.0
	s_mov_b32 s8, 0x977da589
	s_mov_b32 s9, 0x3c833362
	;; [unrolled: 1-line block ×4, first 2 shown]
	v_fma_f64 v[12:13], v[8:9], s[10:11], s[8:9]
	s_mov_b32 s11, 0x3c545cb7
	s_mov_b32 s8, 0x721ebbb4
	;; [unrolled: 1-line block ×3, first 2 shown]
	v_fma_f64 v[15:16], v[8:9], v[12:13], s[10:11]
	s_mov_b32 s10, 0x3b39803f
	s_mov_b32 s11, 0xbc7abc9e
	v_add_f64 v[15:16], v[15:16], s[8:9]
	s_mov_b32 s8, 0x93f65eba
	s_mov_b32 s9, 0x3cdee6d8
	v_fma_f64 v[12:13], v[8:9], v[15:16], -v[12:13]
	v_add_f64 v[12:13], v[12:13], s[8:9]
	s_mov_b32 s8, 0xc297fbeb
	s_mov_b32 s9, 0xbd0a5022
	v_fma_f64 v[15:16], v[8:9], v[12:13], -v[15:16]
	;; [unrolled: 4-line block ×20, first 2 shown]
	v_add_f64 v[15:16], v[15:16], s[8:9]
	s_mov_b32 s8, 0x652b82fe
	s_mov_b32 s9, 0x3ff71547
	v_mul_f64 v[17:18], |v[10:11]|, s[8:9]
	s_mov_b32 s8, 0xf3dde3dd
	s_mov_b32 s9, 0x3f859961
	v_fma_f64 v[12:13], v[8:9], v[15:16], -v[12:13]
	v_rndne_f64_e32 v[17:18], v[17:18]
	v_add_f64 v[12:13], v[12:13], s[8:9]
	s_mov_b32 s8, 0xfefa39ef
	s_mov_b32 s9, 0xbfe62e42
	v_fma_f64 v[10:11], v[17:18], s[8:9], |v[10:11]|
	s_mov_b32 s8, 0xf121b6f0
	s_mov_b32 s9, 0xbf984e9e
	v_fma_f64 v[15:16], v[8:9], v[12:13], -v[15:16]
	v_fma_f64 v[10:11], v[17:18], s[10:11], v[10:11]
	s_mov_b32 s10, 0x6a5dcb37
	s_mov_b32 s11, 0x3e5ade15
	v_add_f64 v[15:16], v[15:16], s[8:9]
	s_mov_b32 s8, 0xfca7ab0c
	s_mov_b32 s9, 0x3e928af3
	v_fma_f64 v[19:20], v[10:11], s[10:11], s[8:9]
	s_mov_b32 s8, 0xcea8a32d
	s_mov_b32 s10, 0x623fde64
	;; [unrolled: 1-line block ×4, first 2 shown]
	v_fma_f64 v[12:13], v[8:9], v[15:16], -v[12:13]
	v_fma_f64 v[19:20], v[10:11], v[19:20], s[10:11]
	s_mov_b32 s10, 0x14761f6e
	s_mov_b32 s11, 0x3f2a01a0
	v_add_f64 v[12:13], v[12:13], s[8:9]
	s_mov_b32 s8, 0x7c89e6b0
	s_mov_b32 s9, 0x3efa0199
	v_fma_f64 v[19:20], v[10:11], v[19:20], s[8:9]
	s_mov_b32 s8, 0x342d06ea
	s_mov_b32 s9, 0xbfb84b70
	v_fma_f64 v[15:16], v[8:9], v[12:13], -v[15:16]
	v_fma_f64 v[19:20], v[10:11], v[19:20], s[10:11]
	s_mov_b32 s10, 0x11122322
	s_mov_b32 s11, 0x3f811111
	v_add_f64 v[15:16], v[15:16], s[8:9]
	s_mov_b32 s8, 0x1852b7b0
	s_mov_b32 s9, 0x3f56c16c
	v_fma_f64 v[19:20], v[10:11], v[19:20], s[8:9]
	s_mov_b32 s8, 0x77ac88c0
	s_mov_b32 s9, 0x3fc5f7ac
	;; [unrolled: 10-line block ×3, first 2 shown]
	v_fma_f64 v[15:16], v[8:9], v[12:13], -v[15:16]
	v_fma_f64 v[19:20], v[10:11], v[19:20], s[10:11]
	v_add_f64 v[15:16], v[15:16], s[8:9]
	s_mov_b32 s8, 11
	s_mov_b32 s9, 0x3fe00000
	v_fma_f64 v[19:20], v[10:11], v[19:20], s[8:9]
	s_mov_b32 s8, 0x9035a22a
	s_mov_b32 s9, 0x3fe5a84e
	v_fma_f64 v[8:9], v[8:9], v[15:16], -v[12:13]
	v_fma_f64 v[15:16], v[10:11], v[19:20], 1.0
	v_add_f64 v[8:9], v[8:9], s[8:9]
	v_fma_f64 v[10:11], v[10:11], v[15:16], 1.0
	v_cvt_i32_f64_e32 v15, v[17:18]
	v_add_f64 v[8:9], v[8:9], -v[12:13]
	v_ldexp_f64 v[10:11], v[10:11], v15
	v_mul_f64 v[8:9], v[8:9], 0.5
	v_mul_f64 v[8:9], v[10:11], v[8:9]
                                        ; implicit-def: $vgpr10_vgpr11
.LBB1_6:
	s_andn2_saveexec_b32 s5, s4
	s_cbranch_execz .LBB1_8
; %bb.7:
	v_and_b32_e32 v9, 0x7fffffff, v11
	v_mov_b32_e32 v8, v10
	s_mov_b32 s8, 0x66119130
	s_mov_b32 s9, 0xbc5646da
	;; [unrolled: 1-line block ×4, first 2 shown]
	v_div_scale_f64 v[12:13], null, v[8:9], v[8:9], 0x40400000
	v_div_scale_f64 v[8:9], vcc_lo, 0x40400000, v[8:9], 0x40400000
	v_cmp_gt_f64_e64 s4, 0x10000000, |v[10:11]|
	v_rcp_f64_e32 v[15:16], v[12:13]
	v_cndmask_b32_e64 v23, 0, 0x100, s4
	v_ldexp_f64 v[23:24], |v[10:11]|, v23
	v_fma_f64 v[17:18], -v[12:13], v[15:16], 1.0
	v_rsq_f64_e32 v[25:26], v[23:24]
	v_fma_f64 v[15:16], v[15:16], v[17:18], v[15:16]
	v_mul_f64 v[27:28], v[23:24], v[25:26]
	v_mul_f64 v[25:26], v[25:26], 0.5
	v_fma_f64 v[17:18], -v[12:13], v[15:16], 1.0
	v_fma_f64 v[29:30], -v[25:26], v[27:28], 0.5
	v_fma_f64 v[15:16], v[15:16], v[17:18], v[15:16]
	v_fma_f64 v[27:28], v[27:28], v[29:30], v[27:28]
	;; [unrolled: 1-line block ×3, first 2 shown]
	v_mul_f64 v[17:18], v[8:9], v[15:16]
	v_fma_f64 v[29:30], -v[27:28], v[27:28], v[23:24]
	v_fma_f64 v[8:9], -v[12:13], v[17:18], v[8:9]
	v_div_fmas_f64 v[8:9], v[8:9], v[15:16], v[17:18]
	v_cmp_nlt_f64_e64 vcc_lo, 0x40900000, |v[10:11]|
	v_div_fixup_f64 v[8:9], v[8:9], |v[10:11]|, 0x40400000
	v_add_f64 v[8:9], v[8:9], -2.0
	v_fma_f64 v[12:13], v[8:9], s[10:11], s[8:9]
	s_mov_b32 s11, 0x3c60adb7
	s_mov_b32 s8, 0x12d98421
	;; [unrolled: 1-line block ×3, first 2 shown]
	v_fma_f64 v[15:16], v[8:9], v[12:13], s[10:11]
	s_mov_b32 s10, 0x6a5dcb37
	s_mov_b32 s11, 0x3e5ade15
	v_add_f64 v[15:16], v[15:16], s[8:9]
	s_mov_b32 s8, 0x76041cd
	s_mov_b32 s9, 0x3c83f3dd
	v_fma_f64 v[12:13], v[8:9], v[15:16], -v[12:13]
	v_add_f64 v[12:13], v[12:13], s[8:9]
	s_mov_b32 s8, 0xabd21fe4
	s_mov_b32 s9, 0xbcb4600b
	v_fma_f64 v[15:16], v[8:9], v[12:13], -v[15:16]
	;; [unrolled: 4-line block ×15, first 2 shown]
	v_add_f64 v[12:13], v[12:13], s[8:9]
	s_mov_b32 s8, 0x652b82fe
	s_mov_b32 s9, 0x3ff71547
	v_mul_f64 v[17:18], |v[10:11]|, s[8:9]
	s_mov_b32 s8, 0xa9225b87
	s_mov_b32 s9, 0x3e2d2c64
	v_fma_f64 v[15:16], v[8:9], v[12:13], -v[15:16]
	v_rndne_f64_e32 v[17:18], v[17:18]
	v_add_f64 v[15:16], v[15:16], s[8:9]
	s_mov_b32 s8, 0xfefa39ef
	s_mov_b32 s9, 0xbfe62e42
	v_fma_f64 v[19:20], v[17:18], s[8:9], |v[10:11]|
	s_mov_b32 s8, 0x3b39803f
	s_mov_b32 s9, 0xbc7abc9e
	v_cndmask_b32_e64 v10, 0, 0xffffff80, s4
	v_cmp_class_f64_e64 s4, v[23:24], 0x260
	v_fma_f64 v[12:13], v[8:9], v[15:16], -v[12:13]
	v_fma_f64 v[19:20], v[17:18], s[8:9], v[19:20]
	s_mov_b32 s8, 0x80d6d56d
	s_mov_b32 s9, 0x3e585692
	v_add_f64 v[12:13], v[12:13], s[8:9]
	s_mov_b32 s8, 0xfca7ab0c
	s_mov_b32 s9, 0x3e928af3
	v_fma_f64 v[21:22], v[19:20], s[10:11], s[8:9]
	s_mov_b32 s8, 0x623fde64
	s_mov_b32 s9, 0x3ec71dee
	v_fma_f64 v[15:16], v[8:9], v[12:13], -v[15:16]
	v_fma_f64 v[21:22], v[19:20], v[21:22], s[8:9]
	s_mov_b32 s8, 0xd9cd616e
	s_mov_b32 s9, 0x3e8b8007
	v_add_f64 v[15:16], v[15:16], s[8:9]
	s_mov_b32 s8, 0x7c89e6b0
	s_mov_b32 s9, 0x3efa0199
	v_fma_f64 v[21:22], v[19:20], v[21:22], s[8:9]
	s_mov_b32 s8, 0x14761f6e
	s_mov_b32 s9, 0x3f2a01a0
	;; [unrolled: 10-line block ×5, first 2 shown]
	v_fma_f64 v[8:9], v[8:9], v[12:13], -v[15:16]
	v_fma_f64 v[12:13], v[29:30], v[25:26], v[27:28]
	v_cvt_i32_f64_e32 v29, v[17:18]
	v_fma_f64 v[21:22], v[19:20], v[21:22], 1.0
	v_add_f64 v[8:9], v[8:9], s[8:9]
	v_fma_f64 v[27:28], -v[12:13], v[12:13], v[23:24]
	v_fma_f64 v[17:18], v[19:20], v[21:22], 1.0
	v_add_f64 v[8:9], v[8:9], -v[15:16]
	v_fma_f64 v[12:13], v[27:28], v[25:26], v[12:13]
	v_ldexp_f64 v[15:16], v[17:18], v29
	v_mul_f64 v[8:9], v[8:9], 0.5
	v_ldexp_f64 v[10:11], v[12:13], v10
	v_cndmask_b32_e32 v13, 0x7ff00000, v16, vcc_lo
	v_cndmask_b32_e32 v12, 0, v15, vcc_lo
	v_mul_f64 v[8:9], v[12:13], v[8:9]
	v_cndmask_b32_e64 v11, v11, v24, s4
	v_cndmask_b32_e64 v10, v10, v23, s4
	v_div_scale_f64 v[12:13], null, v[10:11], v[10:11], v[8:9]
	v_rcp_f64_e32 v[15:16], v[12:13]
	v_fma_f64 v[17:18], -v[12:13], v[15:16], 1.0
	v_fma_f64 v[15:16], v[15:16], v[17:18], v[15:16]
	v_fma_f64 v[17:18], -v[12:13], v[15:16], 1.0
	v_fma_f64 v[15:16], v[15:16], v[17:18], v[15:16]
	v_div_scale_f64 v[17:18], vcc_lo, v[8:9], v[10:11], v[8:9]
	v_mul_f64 v[19:20], v[17:18], v[15:16]
	v_fma_f64 v[12:13], -v[12:13], v[19:20], v[17:18]
	v_div_fmas_f64 v[12:13], v[12:13], v[15:16], v[19:20]
	v_div_fixup_f64 v[8:9], v[12:13], v[10:11], v[8:9]
.LBB1_8:
	s_or_b32 exec_lo, exec_lo, s5
	s_waitcnt vmcnt(0) lgkmcnt(0)
	v_cmp_ge_f64_e64 s4, 0x40200000, |v[2:3]|
                                        ; implicit-def: $vgpr10_vgpr11
	s_and_saveexec_b32 s5, s4
	s_xor_b32 s4, exec_lo, s5
	s_cbranch_execz .LBB1_10
; %bb.9:
	v_fma_f64 v[10:11], |v[2:3]|, 0.5, -2.0
	s_mov_b32 s8, 0x977da589
	s_mov_b32 s9, 0x3c833362
	;; [unrolled: 1-line block ×4, first 2 shown]
	v_fma_f64 v[12:13], v[10:11], s[10:11], s[8:9]
	s_mov_b32 s11, 0x3c545cb7
	s_mov_b32 s8, 0x721ebbb4
	;; [unrolled: 1-line block ×3, first 2 shown]
	v_fma_f64 v[15:16], v[10:11], v[12:13], s[10:11]
	s_mov_b32 s10, 0x3b39803f
	s_mov_b32 s11, 0xbc7abc9e
	v_add_f64 v[15:16], v[15:16], s[8:9]
	s_mov_b32 s8, 0x93f65eba
	s_mov_b32 s9, 0x3cdee6d8
	v_fma_f64 v[12:13], v[10:11], v[15:16], -v[12:13]
	v_add_f64 v[12:13], v[12:13], s[8:9]
	s_mov_b32 s8, 0xc297fbeb
	s_mov_b32 s9, 0xbd0a5022
	v_fma_f64 v[15:16], v[10:11], v[12:13], -v[15:16]
	;; [unrolled: 4-line block ×20, first 2 shown]
	v_add_f64 v[15:16], v[15:16], s[8:9]
	s_mov_b32 s8, 0x652b82fe
	s_mov_b32 s9, 0x3ff71547
	v_mul_f64 v[17:18], |v[2:3]|, s[8:9]
	s_mov_b32 s8, 0xf3dde3dd
	s_mov_b32 s9, 0x3f859961
	v_fma_f64 v[12:13], v[10:11], v[15:16], -v[12:13]
	v_rndne_f64_e32 v[17:18], v[17:18]
	v_add_f64 v[12:13], v[12:13], s[8:9]
	s_mov_b32 s8, 0xfefa39ef
	s_mov_b32 s9, 0xbfe62e42
	v_fma_f64 v[2:3], v[17:18], s[8:9], |v[2:3]|
	s_mov_b32 s8, 0xf121b6f0
	s_mov_b32 s9, 0xbf984e9e
	v_fma_f64 v[15:16], v[10:11], v[12:13], -v[15:16]
	v_fma_f64 v[2:3], v[17:18], s[10:11], v[2:3]
	s_mov_b32 s10, 0x6a5dcb37
	s_mov_b32 s11, 0x3e5ade15
	v_add_f64 v[15:16], v[15:16], s[8:9]
	s_mov_b32 s8, 0xfca7ab0c
	s_mov_b32 s9, 0x3e928af3
	v_fma_f64 v[19:20], v[2:3], s[10:11], s[8:9]
	s_mov_b32 s8, 0xcea8a32d
	s_mov_b32 s10, 0x623fde64
	;; [unrolled: 1-line block ×4, first 2 shown]
	v_fma_f64 v[12:13], v[10:11], v[15:16], -v[12:13]
	v_fma_f64 v[19:20], v[2:3], v[19:20], s[10:11]
	s_mov_b32 s10, 0x14761f6e
	s_mov_b32 s11, 0x3f2a01a0
	v_add_f64 v[12:13], v[12:13], s[8:9]
	s_mov_b32 s8, 0x7c89e6b0
	s_mov_b32 s9, 0x3efa0199
	v_fma_f64 v[19:20], v[2:3], v[19:20], s[8:9]
	s_mov_b32 s8, 0x342d06ea
	s_mov_b32 s9, 0xbfb84b70
	v_fma_f64 v[15:16], v[10:11], v[12:13], -v[15:16]
	v_fma_f64 v[19:20], v[2:3], v[19:20], s[10:11]
	s_mov_b32 s10, 0x11122322
	s_mov_b32 s11, 0x3f811111
	v_add_f64 v[15:16], v[15:16], s[8:9]
	s_mov_b32 s8, 0x1852b7b0
	s_mov_b32 s9, 0x3f56c16c
	v_fma_f64 v[19:20], v[2:3], v[19:20], s[8:9]
	s_mov_b32 s8, 0x77ac88c0
	s_mov_b32 s9, 0x3fc5f7ac
	;; [unrolled: 10-line block ×3, first 2 shown]
	v_fma_f64 v[15:16], v[10:11], v[12:13], -v[15:16]
	v_fma_f64 v[19:20], v[2:3], v[19:20], s[10:11]
	v_add_f64 v[15:16], v[15:16], s[8:9]
	s_mov_b32 s8, 11
	s_mov_b32 s9, 0x3fe00000
	v_fma_f64 v[19:20], v[2:3], v[19:20], s[8:9]
	s_mov_b32 s8, 0x9035a22a
	s_mov_b32 s9, 0x3fe5a84e
	v_fma_f64 v[10:11], v[10:11], v[15:16], -v[12:13]
	v_fma_f64 v[15:16], v[2:3], v[19:20], 1.0
	v_add_f64 v[10:11], v[10:11], s[8:9]
	v_fma_f64 v[2:3], v[2:3], v[15:16], 1.0
	v_cvt_i32_f64_e32 v15, v[17:18]
	v_add_f64 v[10:11], v[10:11], -v[12:13]
	v_ldexp_f64 v[2:3], v[2:3], v15
	v_mul_f64 v[10:11], v[10:11], 0.5
	v_mul_f64 v[10:11], v[2:3], v[10:11]
.LBB1_10:
	s_andn2_saveexec_b32 s5, s4
	s_cbranch_execz .LBB1_12
; %bb.11:
	v_and_b32_e32 v11, 0x7fffffff, v3
	v_mov_b32_e32 v10, v2
	s_mov_b32 s8, 0x66119130
	s_mov_b32 s9, 0xbc5646da
	;; [unrolled: 1-line block ×4, first 2 shown]
	v_div_scale_f64 v[12:13], null, v[10:11], v[10:11], 0x40400000
	v_div_scale_f64 v[10:11], vcc_lo, 0x40400000, v[10:11], 0x40400000
	v_cmp_gt_f64_e64 s4, 0x10000000, |v[2:3]|
	v_rcp_f64_e32 v[15:16], v[12:13]
	v_cndmask_b32_e64 v23, 0, 0x100, s4
	v_ldexp_f64 v[23:24], |v[2:3]|, v23
	v_fma_f64 v[17:18], -v[12:13], v[15:16], 1.0
	v_rsq_f64_e32 v[25:26], v[23:24]
	v_fma_f64 v[15:16], v[15:16], v[17:18], v[15:16]
	v_mul_f64 v[27:28], v[23:24], v[25:26]
	v_mul_f64 v[25:26], v[25:26], 0.5
	v_fma_f64 v[17:18], -v[12:13], v[15:16], 1.0
	v_fma_f64 v[29:30], -v[25:26], v[27:28], 0.5
	v_fma_f64 v[15:16], v[15:16], v[17:18], v[15:16]
	v_fma_f64 v[27:28], v[27:28], v[29:30], v[27:28]
	;; [unrolled: 1-line block ×3, first 2 shown]
	v_mul_f64 v[17:18], v[10:11], v[15:16]
	v_fma_f64 v[29:30], -v[27:28], v[27:28], v[23:24]
	v_fma_f64 v[10:11], -v[12:13], v[17:18], v[10:11]
	v_div_fmas_f64 v[10:11], v[10:11], v[15:16], v[17:18]
	v_cmp_nlt_f64_e64 vcc_lo, 0x40900000, |v[2:3]|
	v_div_fixup_f64 v[10:11], v[10:11], |v[2:3]|, 0x40400000
	v_add_f64 v[10:11], v[10:11], -2.0
	v_fma_f64 v[12:13], v[10:11], s[10:11], s[8:9]
	s_mov_b32 s11, 0x3c60adb7
	s_mov_b32 s8, 0x12d98421
	;; [unrolled: 1-line block ×3, first 2 shown]
	v_fma_f64 v[15:16], v[10:11], v[12:13], s[10:11]
	s_mov_b32 s10, 0x6a5dcb37
	s_mov_b32 s11, 0x3e5ade15
	v_add_f64 v[15:16], v[15:16], s[8:9]
	s_mov_b32 s8, 0x76041cd
	s_mov_b32 s9, 0x3c83f3dd
	v_fma_f64 v[12:13], v[10:11], v[15:16], -v[12:13]
	v_add_f64 v[12:13], v[12:13], s[8:9]
	s_mov_b32 s8, 0xabd21fe4
	s_mov_b32 s9, 0xbcb4600b
	v_fma_f64 v[15:16], v[10:11], v[12:13], -v[15:16]
	;; [unrolled: 4-line block ×15, first 2 shown]
	v_add_f64 v[12:13], v[12:13], s[8:9]
	s_mov_b32 s8, 0x652b82fe
	s_mov_b32 s9, 0x3ff71547
	v_mul_f64 v[17:18], |v[2:3]|, s[8:9]
	s_mov_b32 s8, 0xa9225b87
	s_mov_b32 s9, 0x3e2d2c64
	v_fma_f64 v[15:16], v[10:11], v[12:13], -v[15:16]
	v_rndne_f64_e32 v[17:18], v[17:18]
	v_add_f64 v[15:16], v[15:16], s[8:9]
	s_mov_b32 s8, 0xfefa39ef
	s_mov_b32 s9, 0xbfe62e42
	v_fma_f64 v[19:20], v[17:18], s[8:9], |v[2:3]|
	s_mov_b32 s8, 0x3b39803f
	s_mov_b32 s9, 0xbc7abc9e
	v_fma_f64 v[12:13], v[10:11], v[15:16], -v[12:13]
	v_fma_f64 v[19:20], v[17:18], s[8:9], v[19:20]
	s_mov_b32 s8, 0x80d6d56d
	s_mov_b32 s9, 0x3e585692
	v_add_f64 v[12:13], v[12:13], s[8:9]
	s_mov_b32 s8, 0xfca7ab0c
	s_mov_b32 s9, 0x3e928af3
	v_fma_f64 v[21:22], v[19:20], s[10:11], s[8:9]
	s_mov_b32 s8, 0x623fde64
	s_mov_b32 s9, 0x3ec71dee
	v_fma_f64 v[15:16], v[10:11], v[12:13], -v[15:16]
	v_fma_f64 v[21:22], v[19:20], v[21:22], s[8:9]
	s_mov_b32 s8, 0xd9cd616e
	s_mov_b32 s9, 0x3e8b8007
	v_add_f64 v[15:16], v[15:16], s[8:9]
	s_mov_b32 s8, 0x7c89e6b0
	s_mov_b32 s9, 0x3efa0199
	v_fma_f64 v[21:22], v[19:20], v[21:22], s[8:9]
	;; [unrolled: 10-line block ×5, first 2 shown]
	s_mov_b32 s8, 0xaca809cb
	s_mov_b32 s9, 0x3fe9be62
	v_fma_f64 v[10:11], v[10:11], v[12:13], -v[15:16]
	v_fma_f64 v[12:13], v[29:30], v[25:26], v[27:28]
	v_cvt_i32_f64_e32 v29, v[17:18]
	v_fma_f64 v[21:22], v[19:20], v[21:22], 1.0
	v_add_f64 v[10:11], v[10:11], s[8:9]
	v_fma_f64 v[27:28], -v[12:13], v[12:13], v[23:24]
	v_fma_f64 v[17:18], v[19:20], v[21:22], 1.0
	v_add_f64 v[10:11], v[10:11], -v[15:16]
	v_fma_f64 v[12:13], v[27:28], v[25:26], v[12:13]
	v_ldexp_f64 v[15:16], v[17:18], v29
	v_mul_f64 v[2:3], v[10:11], 0.5
	v_cndmask_b32_e64 v10, 0, 0xffffff80, s4
	v_cmp_class_f64_e64 s4, v[23:24], 0x260
	v_ldexp_f64 v[10:11], v[12:13], v10
	v_cndmask_b32_e32 v13, 0x7ff00000, v16, vcc_lo
	v_cndmask_b32_e32 v12, 0, v15, vcc_lo
	v_mul_f64 v[2:3], v[12:13], v[2:3]
	v_cndmask_b32_e64 v11, v11, v24, s4
	v_cndmask_b32_e64 v10, v10, v23, s4
	v_div_scale_f64 v[12:13], null, v[10:11], v[10:11], v[2:3]
	v_rcp_f64_e32 v[15:16], v[12:13]
	v_fma_f64 v[17:18], -v[12:13], v[15:16], 1.0
	v_fma_f64 v[15:16], v[15:16], v[17:18], v[15:16]
	v_fma_f64 v[17:18], -v[12:13], v[15:16], 1.0
	v_fma_f64 v[15:16], v[15:16], v[17:18], v[15:16]
	v_div_scale_f64 v[17:18], vcc_lo, v[2:3], v[10:11], v[2:3]
	v_mul_f64 v[19:20], v[17:18], v[15:16]
	v_fma_f64 v[12:13], -v[12:13], v[19:20], v[17:18]
	v_div_fmas_f64 v[12:13], v[12:13], v[15:16], v[19:20]
	v_div_fixup_f64 v[10:11], v[12:13], v[10:11], v[2:3]
.LBB1_12:
	s_or_b32 exec_lo, exec_lo, s5
	v_cmp_ge_f64_e64 s4, 0x40200000, |v[4:5]|
	s_and_saveexec_b32 s5, s4
	s_xor_b32 s4, exec_lo, s5
	s_cbranch_execz .LBB1_14
; %bb.13:
	v_fma_f64 v[2:3], |v[4:5]|, 0.5, -2.0
	s_mov_b32 s8, 0x977da589
	s_mov_b32 s9, 0x3c833362
	;; [unrolled: 1-line block ×4, first 2 shown]
	v_fma_f64 v[12:13], v[2:3], s[10:11], s[8:9]
	s_mov_b32 s11, 0x3c545cb7
	s_mov_b32 s8, 0x721ebbb4
	;; [unrolled: 1-line block ×3, first 2 shown]
	v_fma_f64 v[15:16], v[2:3], v[12:13], s[10:11]
	s_mov_b32 s10, 0x3b39803f
	s_mov_b32 s11, 0xbc7abc9e
	v_add_f64 v[15:16], v[15:16], s[8:9]
	s_mov_b32 s8, 0x93f65eba
	s_mov_b32 s9, 0x3cdee6d8
	v_fma_f64 v[12:13], v[2:3], v[15:16], -v[12:13]
	v_add_f64 v[12:13], v[12:13], s[8:9]
	s_mov_b32 s8, 0xc297fbeb
	s_mov_b32 s9, 0xbd0a5022
	v_fma_f64 v[15:16], v[2:3], v[12:13], -v[15:16]
	;; [unrolled: 4-line block ×20, first 2 shown]
	v_add_f64 v[15:16], v[15:16], s[8:9]
	s_mov_b32 s8, 0x652b82fe
	s_mov_b32 s9, 0x3ff71547
	v_mul_f64 v[17:18], |v[4:5]|, s[8:9]
	s_mov_b32 s8, 0xf3dde3dd
	s_mov_b32 s9, 0x3f859961
	v_fma_f64 v[12:13], v[2:3], v[15:16], -v[12:13]
	v_rndne_f64_e32 v[17:18], v[17:18]
	v_add_f64 v[12:13], v[12:13], s[8:9]
	s_mov_b32 s8, 0xfefa39ef
	s_mov_b32 s9, 0xbfe62e42
	v_fma_f64 v[4:5], v[17:18], s[8:9], |v[4:5]|
	s_mov_b32 s8, 0xf121b6f0
	s_mov_b32 s9, 0xbf984e9e
	v_fma_f64 v[15:16], v[2:3], v[12:13], -v[15:16]
	v_fma_f64 v[4:5], v[17:18], s[10:11], v[4:5]
	s_mov_b32 s10, 0x6a5dcb37
	s_mov_b32 s11, 0x3e5ade15
	v_add_f64 v[15:16], v[15:16], s[8:9]
	s_mov_b32 s8, 0xfca7ab0c
	s_mov_b32 s9, 0x3e928af3
	v_fma_f64 v[19:20], v[4:5], s[10:11], s[8:9]
	s_mov_b32 s8, 0xcea8a32d
	s_mov_b32 s10, 0x623fde64
	;; [unrolled: 1-line block ×4, first 2 shown]
	v_fma_f64 v[12:13], v[2:3], v[15:16], -v[12:13]
	v_fma_f64 v[19:20], v[4:5], v[19:20], s[10:11]
	s_mov_b32 s10, 0x14761f6e
	s_mov_b32 s11, 0x3f2a01a0
	v_add_f64 v[12:13], v[12:13], s[8:9]
	s_mov_b32 s8, 0x7c89e6b0
	s_mov_b32 s9, 0x3efa0199
	v_fma_f64 v[19:20], v[4:5], v[19:20], s[8:9]
	s_mov_b32 s8, 0x342d06ea
	s_mov_b32 s9, 0xbfb84b70
	v_fma_f64 v[15:16], v[2:3], v[12:13], -v[15:16]
	v_fma_f64 v[19:20], v[4:5], v[19:20], s[10:11]
	s_mov_b32 s10, 0x11122322
	s_mov_b32 s11, 0x3f811111
	v_add_f64 v[15:16], v[15:16], s[8:9]
	s_mov_b32 s8, 0x1852b7b0
	s_mov_b32 s9, 0x3f56c16c
	v_fma_f64 v[19:20], v[4:5], v[19:20], s[8:9]
	s_mov_b32 s8, 0x77ac88c0
	s_mov_b32 s9, 0x3fc5f7ac
	v_fma_f64 v[12:13], v[2:3], v[15:16], -v[12:13]
	v_fma_f64 v[19:20], v[4:5], v[19:20], s[10:11]
	s_mov_b32 s10, 0x55555511
	s_mov_b32 s11, 0x3fc55555
	v_add_f64 v[12:13], v[12:13], s[8:9]
	s_mov_b32 s8, 0x555502a1
	s_mov_b32 s9, 0x3fa55555
	v_fma_f64 v[19:20], v[4:5], v[19:20], s[8:9]
	s_mov_b32 s8, 0xc057cd8d
	s_mov_b32 s9, 0xbfd37feb
	v_fma_f64 v[15:16], v[2:3], v[12:13], -v[15:16]
	v_fma_f64 v[19:20], v[4:5], v[19:20], s[10:11]
	v_add_f64 v[15:16], v[15:16], s[8:9]
	s_mov_b32 s8, 11
	s_mov_b32 s9, 0x3fe00000
	v_fma_f64 v[19:20], v[4:5], v[19:20], s[8:9]
	s_mov_b32 s8, 0x9035a22a
	s_mov_b32 s9, 0x3fe5a84e
	v_fma_f64 v[2:3], v[2:3], v[15:16], -v[12:13]
	v_fma_f64 v[15:16], v[4:5], v[19:20], 1.0
	v_add_f64 v[2:3], v[2:3], s[8:9]
	v_fma_f64 v[4:5], v[4:5], v[15:16], 1.0
	v_cvt_i32_f64_e32 v15, v[17:18]
	v_add_f64 v[2:3], v[2:3], -v[12:13]
	v_ldexp_f64 v[4:5], v[4:5], v15
	v_mul_f64 v[2:3], v[2:3], 0.5
	v_mul_f64 v[12:13], v[4:5], v[2:3]
                                        ; implicit-def: $vgpr4_vgpr5
.LBB1_14:
	s_andn2_saveexec_b32 s5, s4
	s_cbranch_execz .LBB1_16
; %bb.15:
	v_and_b32_e32 v3, 0x7fffffff, v5
	v_mov_b32_e32 v2, v4
	s_mov_b32 s8, 0x66119130
	s_mov_b32 s9, 0xbc5646da
	;; [unrolled: 1-line block ×4, first 2 shown]
	v_div_scale_f64 v[12:13], null, v[2:3], v[2:3], 0x40400000
	v_div_scale_f64 v[2:3], vcc_lo, 0x40400000, v[2:3], 0x40400000
	v_cmp_gt_f64_e64 s4, 0x10000000, |v[4:5]|
	v_rcp_f64_e32 v[15:16], v[12:13]
	v_cndmask_b32_e64 v23, 0, 0x100, s4
	v_ldexp_f64 v[23:24], |v[4:5]|, v23
	v_fma_f64 v[17:18], -v[12:13], v[15:16], 1.0
	v_rsq_f64_e32 v[25:26], v[23:24]
	v_fma_f64 v[15:16], v[15:16], v[17:18], v[15:16]
	v_mul_f64 v[27:28], v[23:24], v[25:26]
	v_mul_f64 v[25:26], v[25:26], 0.5
	v_fma_f64 v[17:18], -v[12:13], v[15:16], 1.0
	v_fma_f64 v[29:30], -v[25:26], v[27:28], 0.5
	v_fma_f64 v[15:16], v[15:16], v[17:18], v[15:16]
	v_fma_f64 v[27:28], v[27:28], v[29:30], v[27:28]
	;; [unrolled: 1-line block ×3, first 2 shown]
	v_mul_f64 v[17:18], v[2:3], v[15:16]
	v_fma_f64 v[29:30], -v[27:28], v[27:28], v[23:24]
	v_fma_f64 v[2:3], -v[12:13], v[17:18], v[2:3]
	v_div_fmas_f64 v[2:3], v[2:3], v[15:16], v[17:18]
	v_cmp_nlt_f64_e64 vcc_lo, 0x40900000, |v[4:5]|
	v_div_fixup_f64 v[2:3], v[2:3], |v[4:5]|, 0x40400000
	v_add_f64 v[2:3], v[2:3], -2.0
	v_fma_f64 v[12:13], v[2:3], s[10:11], s[8:9]
	s_mov_b32 s11, 0x3c60adb7
	s_mov_b32 s8, 0x12d98421
	;; [unrolled: 1-line block ×3, first 2 shown]
	v_fma_f64 v[15:16], v[2:3], v[12:13], s[10:11]
	s_mov_b32 s10, 0x6a5dcb37
	s_mov_b32 s11, 0x3e5ade15
	v_add_f64 v[15:16], v[15:16], s[8:9]
	s_mov_b32 s8, 0x76041cd
	s_mov_b32 s9, 0x3c83f3dd
	v_fma_f64 v[12:13], v[2:3], v[15:16], -v[12:13]
	v_add_f64 v[12:13], v[12:13], s[8:9]
	s_mov_b32 s8, 0xabd21fe4
	s_mov_b32 s9, 0xbcb4600b
	v_fma_f64 v[15:16], v[2:3], v[12:13], -v[15:16]
	v_add_f64 v[15:16], v[15:16], s[8:9]
	s_mov_b32 s8, 0xd908de38
	s_mov_b32 s9, 0xbcb8aee7
	v_fma_f64 v[12:13], v[2:3], v[15:16], -v[12:13]
	v_add_f64 v[12:13], v[12:13], s[8:9]
	s_mov_b32 s8, 0xa3eafb1f
	s_mov_b32 s9, 0x3cdfee7d
	v_fma_f64 v[15:16], v[2:3], v[12:13], -v[15:16]
	v_add_f64 v[15:16], v[15:16], s[8:9]
	s_mov_b32 s8, 0x9094e6d7
	s_mov_b32 s9, 0x3cf12a91
	v_fma_f64 v[12:13], v[2:3], v[15:16], -v[12:13]
	v_add_f64 v[12:13], v[12:13], s[8:9]
	s_mov_b32 s8, 0x7e65629a
	s_mov_b32 s9, 0xbd0583fe
	v_fma_f64 v[15:16], v[2:3], v[12:13], -v[15:16]
	v_add_f64 v[15:16], v[15:16], s[8:9]
	s_mov_b32 s8, 0xcf68bb32
	s_mov_b32 s9, 0xbd275d99
	v_fma_f64 v[12:13], v[2:3], v[15:16], -v[12:13]
	v_add_f64 v[12:13], v[12:13], s[8:9]
	s_mov_b32 s8, 0xd5fc545
	s_mov_b32 s9, 0x3d1156ff
	v_fma_f64 v[15:16], v[2:3], v[12:13], -v[15:16]
	v_add_f64 v[15:16], v[15:16], s[8:9]
	s_mov_b32 s8, 0x6b83c073
	s_mov_b32 s9, 0x3d5b1c8c
	v_fma_f64 v[12:13], v[2:3], v[15:16], -v[12:13]
	v_add_f64 v[12:13], v[12:13], s[8:9]
	s_mov_b32 s8, 0xfa268cec
	s_mov_b32 s9, 0x3d694347
	v_fma_f64 v[15:16], v[2:3], v[12:13], -v[15:16]
	v_add_f64 v[15:16], v[15:16], s[8:9]
	s_mov_b32 s8, 0x3178d66
	s_mov_b32 s9, 0xbd7f9043
	v_fma_f64 v[12:13], v[2:3], v[15:16], -v[12:13]
	v_add_f64 v[12:13], v[12:13], s[8:9]
	s_mov_b32 s8, 0x357e7bf2
	s_mov_b32 s9, 0xbdad0fd7
	v_fma_f64 v[15:16], v[2:3], v[12:13], -v[15:16]
	v_add_f64 v[15:16], v[15:16], s[8:9]
	s_mov_b32 s8, 0x8397425
	s_mov_b32 s9, 0xbdc1511d
	v_fma_f64 v[12:13], v[2:3], v[15:16], -v[12:13]
	v_add_f64 v[12:13], v[12:13], s[8:9]
	s_mov_b32 s8, 0xabe8004f
	s_mov_b32 s9, 0x3daa24fe
	v_fma_f64 v[15:16], v[2:3], v[12:13], -v[15:16]
	v_add_f64 v[15:16], v[15:16], s[8:9]
	s_mov_b32 s8, 0xc0f46f75
	s_mov_b32 s9, 0x3e00f9cc
	v_fma_f64 v[12:13], v[2:3], v[15:16], -v[12:13]
	v_add_f64 v[12:13], v[12:13], s[8:9]
	s_mov_b32 s8, 0x652b82fe
	s_mov_b32 s9, 0x3ff71547
	v_mul_f64 v[17:18], |v[4:5]|, s[8:9]
	s_mov_b32 s8, 0xa9225b87
	s_mov_b32 s9, 0x3e2d2c64
	v_fma_f64 v[15:16], v[2:3], v[12:13], -v[15:16]
	v_rndne_f64_e32 v[17:18], v[17:18]
	v_add_f64 v[15:16], v[15:16], s[8:9]
	s_mov_b32 s8, 0xfefa39ef
	s_mov_b32 s9, 0xbfe62e42
	v_fma_f64 v[19:20], v[17:18], s[8:9], |v[4:5]|
	s_mov_b32 s8, 0x3b39803f
	s_mov_b32 s9, 0xbc7abc9e
	v_cndmask_b32_e64 v4, 0, 0xffffff80, s4
	v_cmp_class_f64_e64 s4, v[23:24], 0x260
	v_fma_f64 v[12:13], v[2:3], v[15:16], -v[12:13]
	v_fma_f64 v[19:20], v[17:18], s[8:9], v[19:20]
	s_mov_b32 s8, 0x80d6d56d
	s_mov_b32 s9, 0x3e585692
	v_add_f64 v[12:13], v[12:13], s[8:9]
	s_mov_b32 s8, 0xfca7ab0c
	s_mov_b32 s9, 0x3e928af3
	v_fma_f64 v[21:22], v[19:20], s[10:11], s[8:9]
	s_mov_b32 s8, 0x623fde64
	s_mov_b32 s9, 0x3ec71dee
	v_fma_f64 v[15:16], v[2:3], v[12:13], -v[15:16]
	v_fma_f64 v[21:22], v[19:20], v[21:22], s[8:9]
	s_mov_b32 s8, 0xd9cd616e
	s_mov_b32 s9, 0x3e8b8007
	v_add_f64 v[15:16], v[15:16], s[8:9]
	s_mov_b32 s8, 0x7c89e6b0
	s_mov_b32 s9, 0x3efa0199
	v_fma_f64 v[21:22], v[19:20], v[21:22], s[8:9]
	s_mov_b32 s8, 0x14761f6e
	s_mov_b32 s9, 0x3f2a01a0
	;; [unrolled: 10-line block ×5, first 2 shown]
	v_fma_f64 v[2:3], v[2:3], v[12:13], -v[15:16]
	v_fma_f64 v[12:13], v[29:30], v[25:26], v[27:28]
	v_cvt_i32_f64_e32 v29, v[17:18]
	v_fma_f64 v[21:22], v[19:20], v[21:22], 1.0
	v_add_f64 v[2:3], v[2:3], s[8:9]
	v_fma_f64 v[27:28], -v[12:13], v[12:13], v[23:24]
	v_fma_f64 v[17:18], v[19:20], v[21:22], 1.0
	v_add_f64 v[2:3], v[2:3], -v[15:16]
	v_fma_f64 v[12:13], v[27:28], v[25:26], v[12:13]
	v_ldexp_f64 v[15:16], v[17:18], v29
	v_mul_f64 v[2:3], v[2:3], 0.5
	v_ldexp_f64 v[4:5], v[12:13], v4
	v_cndmask_b32_e32 v13, 0x7ff00000, v16, vcc_lo
	v_cndmask_b32_e32 v12, 0, v15, vcc_lo
	v_mul_f64 v[2:3], v[12:13], v[2:3]
	v_cndmask_b32_e64 v5, v5, v24, s4
	v_cndmask_b32_e64 v4, v4, v23, s4
	v_div_scale_f64 v[12:13], null, v[4:5], v[4:5], v[2:3]
	v_rcp_f64_e32 v[15:16], v[12:13]
	v_fma_f64 v[17:18], -v[12:13], v[15:16], 1.0
	v_fma_f64 v[15:16], v[15:16], v[17:18], v[15:16]
	v_fma_f64 v[17:18], -v[12:13], v[15:16], 1.0
	v_fma_f64 v[15:16], v[15:16], v[17:18], v[15:16]
	v_div_scale_f64 v[17:18], vcc_lo, v[2:3], v[4:5], v[2:3]
	v_mul_f64 v[19:20], v[17:18], v[15:16]
	v_fma_f64 v[12:13], -v[12:13], v[19:20], v[17:18]
	v_div_fmas_f64 v[12:13], v[12:13], v[15:16], v[19:20]
	v_div_fixup_f64 v[12:13], v[12:13], v[4:5], v[2:3]
.LBB1_16:
	s_or_b32 exec_lo, exec_lo, s5
	v_add_co_u32 v0, vcc_lo, v0, s6
	v_add_co_ci_u32_e64 v1, null, s7, v1, vcc_lo
	v_add_co_u32 v0, vcc_lo, v0, v14
	v_add_co_ci_u32_e64 v1, null, 0, v1, vcc_lo
	flat_store_dwordx4 v[0:1], v[6:9]
	flat_store_dwordx4 v[0:1], v[10:13] offset:16
	s_waitcnt lgkmcnt(0)
	s_setpc_b64 s[30:31]
.Lfunc_end1:
	.size	_ZN2at6native25elementwise_kernel_helperILb0EZZZNS0_12_GLOBAL__N_130modified_bessel_i0_kernel_cudaERNS_18TensorIteratorBaseEENKUlvE_clEvENKUlvE_clEvEUldE_NS0_6memory8policies10vectorizedILi4ESt5arrayIPcLm2EELi4EEEEEvT0_T1_, .Lfunc_end1-_ZN2at6native25elementwise_kernel_helperILb0EZZZNS0_12_GLOBAL__N_130modified_bessel_i0_kernel_cudaERNS_18TensorIteratorBaseEENKUlvE_clEvENKUlvE_clEvEUldE_NS0_6memory8policies10vectorizedILi4ESt5arrayIPcLm2EELi4EEEEEvT0_T1_
                                        ; -- End function
	.set .L_ZN2at6native25elementwise_kernel_helperILb0EZZZNS0_12_GLOBAL__N_130modified_bessel_i0_kernel_cudaERNS_18TensorIteratorBaseEENKUlvE_clEvENKUlvE_clEvEUldE_NS0_6memory8policies10vectorizedILi4ESt5arrayIPcLm2EELi4EEEEEvT0_T1_.num_vgpr, 32
	.set .L_ZN2at6native25elementwise_kernel_helperILb0EZZZNS0_12_GLOBAL__N_130modified_bessel_i0_kernel_cudaERNS_18TensorIteratorBaseEENKUlvE_clEvENKUlvE_clEvEUldE_NS0_6memory8policies10vectorizedILi4ESt5arrayIPcLm2EELi4EEEEEvT0_T1_.num_agpr, 0
	.set .L_ZN2at6native25elementwise_kernel_helperILb0EZZZNS0_12_GLOBAL__N_130modified_bessel_i0_kernel_cudaERNS_18TensorIteratorBaseEENKUlvE_clEvENKUlvE_clEvEUldE_NS0_6memory8policies10vectorizedILi4ESt5arrayIPcLm2EELi4EEEEEvT0_T1_.numbered_sgpr, 32
	.set .L_ZN2at6native25elementwise_kernel_helperILb0EZZZNS0_12_GLOBAL__N_130modified_bessel_i0_kernel_cudaERNS_18TensorIteratorBaseEENKUlvE_clEvENKUlvE_clEvEUldE_NS0_6memory8policies10vectorizedILi4ESt5arrayIPcLm2EELi4EEEEEvT0_T1_.num_named_barrier, 0
	.set .L_ZN2at6native25elementwise_kernel_helperILb0EZZZNS0_12_GLOBAL__N_130modified_bessel_i0_kernel_cudaERNS_18TensorIteratorBaseEENKUlvE_clEvENKUlvE_clEvEUldE_NS0_6memory8policies10vectorizedILi4ESt5arrayIPcLm2EELi4EEEEEvT0_T1_.private_seg_size, 0
	.set .L_ZN2at6native25elementwise_kernel_helperILb0EZZZNS0_12_GLOBAL__N_130modified_bessel_i0_kernel_cudaERNS_18TensorIteratorBaseEENKUlvE_clEvENKUlvE_clEvEUldE_NS0_6memory8policies10vectorizedILi4ESt5arrayIPcLm2EELi4EEEEEvT0_T1_.uses_vcc, 1
	.set .L_ZN2at6native25elementwise_kernel_helperILb0EZZZNS0_12_GLOBAL__N_130modified_bessel_i0_kernel_cudaERNS_18TensorIteratorBaseEENKUlvE_clEvENKUlvE_clEvEUldE_NS0_6memory8policies10vectorizedILi4ESt5arrayIPcLm2EELi4EEEEEvT0_T1_.uses_flat_scratch, 1
	.set .L_ZN2at6native25elementwise_kernel_helperILb0EZZZNS0_12_GLOBAL__N_130modified_bessel_i0_kernel_cudaERNS_18TensorIteratorBaseEENKUlvE_clEvENKUlvE_clEvEUldE_NS0_6memory8policies10vectorizedILi4ESt5arrayIPcLm2EELi4EEEEEvT0_T1_.has_dyn_sized_stack, 0
	.set .L_ZN2at6native25elementwise_kernel_helperILb0EZZZNS0_12_GLOBAL__N_130modified_bessel_i0_kernel_cudaERNS_18TensorIteratorBaseEENKUlvE_clEvENKUlvE_clEvEUldE_NS0_6memory8policies10vectorizedILi4ESt5arrayIPcLm2EELi4EEEEEvT0_T1_.has_recursion, 0
	.set .L_ZN2at6native25elementwise_kernel_helperILb0EZZZNS0_12_GLOBAL__N_130modified_bessel_i0_kernel_cudaERNS_18TensorIteratorBaseEENKUlvE_clEvENKUlvE_clEvEUldE_NS0_6memory8policies10vectorizedILi4ESt5arrayIPcLm2EELi4EEEEEvT0_T1_.has_indirect_call, 0
	.section	.AMDGPU.csdata,"",@progbits
; Function info:
; codeLenInByte = 11600
; TotalNumSgprs: 34
; NumVgprs: 32
; ScratchSize: 0
; MemoryBound: 0
	.section	.text._ZN2at6native29vectorized_elementwise_kernelILi16EZZZNS0_12_GLOBAL__N_130modified_bessel_i0_kernel_cudaERNS_18TensorIteratorBaseEENKUlvE_clEvENKUlvE_clEvEUldE_St5arrayIPcLm2EEEEviT0_T1_,"axG",@progbits,_ZN2at6native29vectorized_elementwise_kernelILi16EZZZNS0_12_GLOBAL__N_130modified_bessel_i0_kernel_cudaERNS_18TensorIteratorBaseEENKUlvE_clEvENKUlvE_clEvEUldE_St5arrayIPcLm2EEEEviT0_T1_,comdat
	.globl	_ZN2at6native29vectorized_elementwise_kernelILi16EZZZNS0_12_GLOBAL__N_130modified_bessel_i0_kernel_cudaERNS_18TensorIteratorBaseEENKUlvE_clEvENKUlvE_clEvEUldE_St5arrayIPcLm2EEEEviT0_T1_ ; -- Begin function _ZN2at6native29vectorized_elementwise_kernelILi16EZZZNS0_12_GLOBAL__N_130modified_bessel_i0_kernel_cudaERNS_18TensorIteratorBaseEENKUlvE_clEvENKUlvE_clEvEUldE_St5arrayIPcLm2EEEEviT0_T1_
	.p2align	8
	.type	_ZN2at6native29vectorized_elementwise_kernelILi16EZZZNS0_12_GLOBAL__N_130modified_bessel_i0_kernel_cudaERNS_18TensorIteratorBaseEENKUlvE_clEvENKUlvE_clEvEUldE_St5arrayIPcLm2EEEEviT0_T1_,@function
_ZN2at6native29vectorized_elementwise_kernelILi16EZZZNS0_12_GLOBAL__N_130modified_bessel_i0_kernel_cudaERNS_18TensorIteratorBaseEENKUlvE_clEvENKUlvE_clEvEUldE_St5arrayIPcLm2EEEEviT0_T1_: ; @_ZN2at6native29vectorized_elementwise_kernelILi16EZZZNS0_12_GLOBAL__N_130modified_bessel_i0_kernel_cudaERNS_18TensorIteratorBaseEENKUlvE_clEvENKUlvE_clEvEUldE_St5arrayIPcLm2EEEEviT0_T1_
; %bb.0:
	s_mov_b32 s12, s6
	s_clause 0x1
	s_load_dword s6, s[4:5], 0x0
	s_load_dwordx4 s[16:19], s[4:5], 0x8
	s_add_u32 s0, s0, s7
	s_addc_u32 s1, s1, 0
	s_lshl_b32 s4, s12, 10
	v_mov_b32_e32 v31, v0
	s_mov_b32 s32, 0
	s_waitcnt lgkmcnt(0)
	s_sub_i32 s13, s6, s4
	s_mov_b32 s4, -1
	s_cmpk_gt_i32 s13, 0x3ff
	s_cbranch_scc1 .LBB2_3
; %bb.1:
	s_andn2_b32 vcc_lo, exec_lo, s4
	s_cbranch_vccz .LBB2_4
.LBB2_2:
	s_endpgm
.LBB2_3:
	v_mov_b32_e32 v0, s16
	v_mov_b32_e32 v1, s17
	;; [unrolled: 1-line block ×4, first 2 shown]
	s_getpc_b64 s[4:5]
	s_add_u32 s4, s4, _ZN2at6native25elementwise_kernel_helperILb0EZZZNS0_12_GLOBAL__N_130modified_bessel_i0_kernel_cudaERNS_18TensorIteratorBaseEENKUlvE_clEvENKUlvE_clEvEUldE_NS0_6memory8policies10vectorizedILi4ESt5arrayIPcLm2EELi4EEEEEvT0_T1_@rel32@lo+4
	s_addc_u32 s5, s5, _ZN2at6native25elementwise_kernel_helperILb0EZZZNS0_12_GLOBAL__N_130modified_bessel_i0_kernel_cudaERNS_18TensorIteratorBaseEENKUlvE_clEvENKUlvE_clEvEUldE_NS0_6memory8policies10vectorizedILi4ESt5arrayIPcLm2EELi4EEEEEvT0_T1_@rel32@hi+12
	s_swappc_b64 s[30:31], s[4:5]
	s_cbranch_execnz .LBB2_2
.LBB2_4:
	v_mov_b32_e32 v0, s16
	v_mov_b32_e32 v1, s17
	;; [unrolled: 1-line block ×5, first 2 shown]
	s_getpc_b64 s[4:5]
	s_add_u32 s4, s4, _ZN2at6native25elementwise_kernel_helperILb0EZZZNS0_12_GLOBAL__N_130modified_bessel_i0_kernel_cudaERNS_18TensorIteratorBaseEENKUlvE_clEvENKUlvE_clEvEUldE_NS0_6memory8policies11unroll_baseILi256ESt5arrayIPcLm2EE23TrivialOffsetCalculatorILi1EjESF_NS8_15LoadWithoutCastENS8_16StoreWithoutCastELi4ELi1EEEEEvT0_T1_@rel32@lo+4
	s_addc_u32 s5, s5, _ZN2at6native25elementwise_kernel_helperILb0EZZZNS0_12_GLOBAL__N_130modified_bessel_i0_kernel_cudaERNS_18TensorIteratorBaseEENKUlvE_clEvENKUlvE_clEvEUldE_NS0_6memory8policies11unroll_baseILi256ESt5arrayIPcLm2EE23TrivialOffsetCalculatorILi1EjESF_NS8_15LoadWithoutCastENS8_16StoreWithoutCastELi4ELi1EEEEEvT0_T1_@rel32@hi+12
	s_swappc_b64 s[30:31], s[4:5]
	s_endpgm
	.section	.rodata,"a",@progbits
	.p2align	6, 0x0
	.amdhsa_kernel _ZN2at6native29vectorized_elementwise_kernelILi16EZZZNS0_12_GLOBAL__N_130modified_bessel_i0_kernel_cudaERNS_18TensorIteratorBaseEENKUlvE_clEvENKUlvE_clEvEUldE_St5arrayIPcLm2EEEEviT0_T1_
		.amdhsa_group_segment_fixed_size 0
		.amdhsa_private_segment_fixed_size 0
		.amdhsa_kernarg_size 24
		.amdhsa_user_sgpr_count 6
		.amdhsa_user_sgpr_private_segment_buffer 1
		.amdhsa_user_sgpr_dispatch_ptr 0
		.amdhsa_user_sgpr_queue_ptr 0
		.amdhsa_user_sgpr_kernarg_segment_ptr 1
		.amdhsa_user_sgpr_dispatch_id 0
		.amdhsa_user_sgpr_flat_scratch_init 0
		.amdhsa_user_sgpr_private_segment_size 0
		.amdhsa_wavefront_size32 1
		.amdhsa_uses_dynamic_stack 0
		.amdhsa_system_sgpr_private_segment_wavefront_offset 0
		.amdhsa_system_sgpr_workgroup_id_x 1
		.amdhsa_system_sgpr_workgroup_id_y 0
		.amdhsa_system_sgpr_workgroup_id_z 0
		.amdhsa_system_sgpr_workgroup_info 0
		.amdhsa_system_vgpr_workitem_id 0
		.amdhsa_next_free_vgpr 38
		.amdhsa_next_free_sgpr 33
		.amdhsa_reserve_vcc 1
		.amdhsa_reserve_flat_scratch 1
		.amdhsa_float_round_mode_32 0
		.amdhsa_float_round_mode_16_64 0
		.amdhsa_float_denorm_mode_32 3
		.amdhsa_float_denorm_mode_16_64 3
		.amdhsa_dx10_clamp 1
		.amdhsa_ieee_mode 1
		.amdhsa_fp16_overflow 0
		.amdhsa_workgroup_processor_mode 1
		.amdhsa_memory_ordered 1
		.amdhsa_forward_progress 1
		.amdhsa_shared_vgpr_count 0
		.amdhsa_exception_fp_ieee_invalid_op 0
		.amdhsa_exception_fp_denorm_src 0
		.amdhsa_exception_fp_ieee_div_zero 0
		.amdhsa_exception_fp_ieee_overflow 0
		.amdhsa_exception_fp_ieee_underflow 0
		.amdhsa_exception_fp_ieee_inexact 0
		.amdhsa_exception_int_div_zero 0
	.end_amdhsa_kernel
	.section	.text._ZN2at6native29vectorized_elementwise_kernelILi16EZZZNS0_12_GLOBAL__N_130modified_bessel_i0_kernel_cudaERNS_18TensorIteratorBaseEENKUlvE_clEvENKUlvE_clEvEUldE_St5arrayIPcLm2EEEEviT0_T1_,"axG",@progbits,_ZN2at6native29vectorized_elementwise_kernelILi16EZZZNS0_12_GLOBAL__N_130modified_bessel_i0_kernel_cudaERNS_18TensorIteratorBaseEENKUlvE_clEvENKUlvE_clEvEUldE_St5arrayIPcLm2EEEEviT0_T1_,comdat
.Lfunc_end2:
	.size	_ZN2at6native29vectorized_elementwise_kernelILi16EZZZNS0_12_GLOBAL__N_130modified_bessel_i0_kernel_cudaERNS_18TensorIteratorBaseEENKUlvE_clEvENKUlvE_clEvEUldE_St5arrayIPcLm2EEEEviT0_T1_, .Lfunc_end2-_ZN2at6native29vectorized_elementwise_kernelILi16EZZZNS0_12_GLOBAL__N_130modified_bessel_i0_kernel_cudaERNS_18TensorIteratorBaseEENKUlvE_clEvENKUlvE_clEvEUldE_St5arrayIPcLm2EEEEviT0_T1_
                                        ; -- End function
	.set _ZN2at6native29vectorized_elementwise_kernelILi16EZZZNS0_12_GLOBAL__N_130modified_bessel_i0_kernel_cudaERNS_18TensorIteratorBaseEENKUlvE_clEvENKUlvE_clEvEUldE_St5arrayIPcLm2EEEEviT0_T1_.num_vgpr, max(32, .L_ZN2at6native25elementwise_kernel_helperILb0EZZZNS0_12_GLOBAL__N_130modified_bessel_i0_kernel_cudaERNS_18TensorIteratorBaseEENKUlvE_clEvENKUlvE_clEvEUldE_NS0_6memory8policies10vectorizedILi4ESt5arrayIPcLm2EELi4EEEEEvT0_T1_.num_vgpr, .L_ZN2at6native25elementwise_kernel_helperILb0EZZZNS0_12_GLOBAL__N_130modified_bessel_i0_kernel_cudaERNS_18TensorIteratorBaseEENKUlvE_clEvENKUlvE_clEvEUldE_NS0_6memory8policies11unroll_baseILi256ESt5arrayIPcLm2EE23TrivialOffsetCalculatorILi1EjESF_NS8_15LoadWithoutCastENS8_16StoreWithoutCastELi4ELi1EEEEEvT0_T1_.num_vgpr)
	.set _ZN2at6native29vectorized_elementwise_kernelILi16EZZZNS0_12_GLOBAL__N_130modified_bessel_i0_kernel_cudaERNS_18TensorIteratorBaseEENKUlvE_clEvENKUlvE_clEvEUldE_St5arrayIPcLm2EEEEviT0_T1_.num_agpr, max(0, .L_ZN2at6native25elementwise_kernel_helperILb0EZZZNS0_12_GLOBAL__N_130modified_bessel_i0_kernel_cudaERNS_18TensorIteratorBaseEENKUlvE_clEvENKUlvE_clEvEUldE_NS0_6memory8policies10vectorizedILi4ESt5arrayIPcLm2EELi4EEEEEvT0_T1_.num_agpr, .L_ZN2at6native25elementwise_kernel_helperILb0EZZZNS0_12_GLOBAL__N_130modified_bessel_i0_kernel_cudaERNS_18TensorIteratorBaseEENKUlvE_clEvENKUlvE_clEvEUldE_NS0_6memory8policies11unroll_baseILi256ESt5arrayIPcLm2EE23TrivialOffsetCalculatorILi1EjESF_NS8_15LoadWithoutCastENS8_16StoreWithoutCastELi4ELi1EEEEEvT0_T1_.num_agpr)
	.set _ZN2at6native29vectorized_elementwise_kernelILi16EZZZNS0_12_GLOBAL__N_130modified_bessel_i0_kernel_cudaERNS_18TensorIteratorBaseEENKUlvE_clEvENKUlvE_clEvEUldE_St5arrayIPcLm2EEEEviT0_T1_.numbered_sgpr, max(33, .L_ZN2at6native25elementwise_kernel_helperILb0EZZZNS0_12_GLOBAL__N_130modified_bessel_i0_kernel_cudaERNS_18TensorIteratorBaseEENKUlvE_clEvENKUlvE_clEvEUldE_NS0_6memory8policies10vectorizedILi4ESt5arrayIPcLm2EELi4EEEEEvT0_T1_.numbered_sgpr, .L_ZN2at6native25elementwise_kernel_helperILb0EZZZNS0_12_GLOBAL__N_130modified_bessel_i0_kernel_cudaERNS_18TensorIteratorBaseEENKUlvE_clEvENKUlvE_clEvEUldE_NS0_6memory8policies11unroll_baseILi256ESt5arrayIPcLm2EE23TrivialOffsetCalculatorILi1EjESF_NS8_15LoadWithoutCastENS8_16StoreWithoutCastELi4ELi1EEEEEvT0_T1_.numbered_sgpr)
	.set _ZN2at6native29vectorized_elementwise_kernelILi16EZZZNS0_12_GLOBAL__N_130modified_bessel_i0_kernel_cudaERNS_18TensorIteratorBaseEENKUlvE_clEvENKUlvE_clEvEUldE_St5arrayIPcLm2EEEEviT0_T1_.num_named_barrier, max(0, .L_ZN2at6native25elementwise_kernel_helperILb0EZZZNS0_12_GLOBAL__N_130modified_bessel_i0_kernel_cudaERNS_18TensorIteratorBaseEENKUlvE_clEvENKUlvE_clEvEUldE_NS0_6memory8policies10vectorizedILi4ESt5arrayIPcLm2EELi4EEEEEvT0_T1_.num_named_barrier, .L_ZN2at6native25elementwise_kernel_helperILb0EZZZNS0_12_GLOBAL__N_130modified_bessel_i0_kernel_cudaERNS_18TensorIteratorBaseEENKUlvE_clEvENKUlvE_clEvEUldE_NS0_6memory8policies11unroll_baseILi256ESt5arrayIPcLm2EE23TrivialOffsetCalculatorILi1EjESF_NS8_15LoadWithoutCastENS8_16StoreWithoutCastELi4ELi1EEEEEvT0_T1_.num_named_barrier)
	.set _ZN2at6native29vectorized_elementwise_kernelILi16EZZZNS0_12_GLOBAL__N_130modified_bessel_i0_kernel_cudaERNS_18TensorIteratorBaseEENKUlvE_clEvENKUlvE_clEvEUldE_St5arrayIPcLm2EEEEviT0_T1_.private_seg_size, 0+max(.L_ZN2at6native25elementwise_kernel_helperILb0EZZZNS0_12_GLOBAL__N_130modified_bessel_i0_kernel_cudaERNS_18TensorIteratorBaseEENKUlvE_clEvENKUlvE_clEvEUldE_NS0_6memory8policies10vectorizedILi4ESt5arrayIPcLm2EELi4EEEEEvT0_T1_.private_seg_size, .L_ZN2at6native25elementwise_kernel_helperILb0EZZZNS0_12_GLOBAL__N_130modified_bessel_i0_kernel_cudaERNS_18TensorIteratorBaseEENKUlvE_clEvENKUlvE_clEvEUldE_NS0_6memory8policies11unroll_baseILi256ESt5arrayIPcLm2EE23TrivialOffsetCalculatorILi1EjESF_NS8_15LoadWithoutCastENS8_16StoreWithoutCastELi4ELi1EEEEEvT0_T1_.private_seg_size)
	.set _ZN2at6native29vectorized_elementwise_kernelILi16EZZZNS0_12_GLOBAL__N_130modified_bessel_i0_kernel_cudaERNS_18TensorIteratorBaseEENKUlvE_clEvENKUlvE_clEvEUldE_St5arrayIPcLm2EEEEviT0_T1_.uses_vcc, or(1, .L_ZN2at6native25elementwise_kernel_helperILb0EZZZNS0_12_GLOBAL__N_130modified_bessel_i0_kernel_cudaERNS_18TensorIteratorBaseEENKUlvE_clEvENKUlvE_clEvEUldE_NS0_6memory8policies10vectorizedILi4ESt5arrayIPcLm2EELi4EEEEEvT0_T1_.uses_vcc, .L_ZN2at6native25elementwise_kernel_helperILb0EZZZNS0_12_GLOBAL__N_130modified_bessel_i0_kernel_cudaERNS_18TensorIteratorBaseEENKUlvE_clEvENKUlvE_clEvEUldE_NS0_6memory8policies11unroll_baseILi256ESt5arrayIPcLm2EE23TrivialOffsetCalculatorILi1EjESF_NS8_15LoadWithoutCastENS8_16StoreWithoutCastELi4ELi1EEEEEvT0_T1_.uses_vcc)
	.set _ZN2at6native29vectorized_elementwise_kernelILi16EZZZNS0_12_GLOBAL__N_130modified_bessel_i0_kernel_cudaERNS_18TensorIteratorBaseEENKUlvE_clEvENKUlvE_clEvEUldE_St5arrayIPcLm2EEEEviT0_T1_.uses_flat_scratch, or(0, .L_ZN2at6native25elementwise_kernel_helperILb0EZZZNS0_12_GLOBAL__N_130modified_bessel_i0_kernel_cudaERNS_18TensorIteratorBaseEENKUlvE_clEvENKUlvE_clEvEUldE_NS0_6memory8policies10vectorizedILi4ESt5arrayIPcLm2EELi4EEEEEvT0_T1_.uses_flat_scratch, .L_ZN2at6native25elementwise_kernel_helperILb0EZZZNS0_12_GLOBAL__N_130modified_bessel_i0_kernel_cudaERNS_18TensorIteratorBaseEENKUlvE_clEvENKUlvE_clEvEUldE_NS0_6memory8policies11unroll_baseILi256ESt5arrayIPcLm2EE23TrivialOffsetCalculatorILi1EjESF_NS8_15LoadWithoutCastENS8_16StoreWithoutCastELi4ELi1EEEEEvT0_T1_.uses_flat_scratch)
	.set _ZN2at6native29vectorized_elementwise_kernelILi16EZZZNS0_12_GLOBAL__N_130modified_bessel_i0_kernel_cudaERNS_18TensorIteratorBaseEENKUlvE_clEvENKUlvE_clEvEUldE_St5arrayIPcLm2EEEEviT0_T1_.has_dyn_sized_stack, or(0, .L_ZN2at6native25elementwise_kernel_helperILb0EZZZNS0_12_GLOBAL__N_130modified_bessel_i0_kernel_cudaERNS_18TensorIteratorBaseEENKUlvE_clEvENKUlvE_clEvEUldE_NS0_6memory8policies10vectorizedILi4ESt5arrayIPcLm2EELi4EEEEEvT0_T1_.has_dyn_sized_stack, .L_ZN2at6native25elementwise_kernel_helperILb0EZZZNS0_12_GLOBAL__N_130modified_bessel_i0_kernel_cudaERNS_18TensorIteratorBaseEENKUlvE_clEvENKUlvE_clEvEUldE_NS0_6memory8policies11unroll_baseILi256ESt5arrayIPcLm2EE23TrivialOffsetCalculatorILi1EjESF_NS8_15LoadWithoutCastENS8_16StoreWithoutCastELi4ELi1EEEEEvT0_T1_.has_dyn_sized_stack)
	.set _ZN2at6native29vectorized_elementwise_kernelILi16EZZZNS0_12_GLOBAL__N_130modified_bessel_i0_kernel_cudaERNS_18TensorIteratorBaseEENKUlvE_clEvENKUlvE_clEvEUldE_St5arrayIPcLm2EEEEviT0_T1_.has_recursion, or(0, .L_ZN2at6native25elementwise_kernel_helperILb0EZZZNS0_12_GLOBAL__N_130modified_bessel_i0_kernel_cudaERNS_18TensorIteratorBaseEENKUlvE_clEvENKUlvE_clEvEUldE_NS0_6memory8policies10vectorizedILi4ESt5arrayIPcLm2EELi4EEEEEvT0_T1_.has_recursion, .L_ZN2at6native25elementwise_kernel_helperILb0EZZZNS0_12_GLOBAL__N_130modified_bessel_i0_kernel_cudaERNS_18TensorIteratorBaseEENKUlvE_clEvENKUlvE_clEvEUldE_NS0_6memory8policies11unroll_baseILi256ESt5arrayIPcLm2EE23TrivialOffsetCalculatorILi1EjESF_NS8_15LoadWithoutCastENS8_16StoreWithoutCastELi4ELi1EEEEEvT0_T1_.has_recursion)
	.set _ZN2at6native29vectorized_elementwise_kernelILi16EZZZNS0_12_GLOBAL__N_130modified_bessel_i0_kernel_cudaERNS_18TensorIteratorBaseEENKUlvE_clEvENKUlvE_clEvEUldE_St5arrayIPcLm2EEEEviT0_T1_.has_indirect_call, or(0, .L_ZN2at6native25elementwise_kernel_helperILb0EZZZNS0_12_GLOBAL__N_130modified_bessel_i0_kernel_cudaERNS_18TensorIteratorBaseEENKUlvE_clEvENKUlvE_clEvEUldE_NS0_6memory8policies10vectorizedILi4ESt5arrayIPcLm2EELi4EEEEEvT0_T1_.has_indirect_call, .L_ZN2at6native25elementwise_kernel_helperILb0EZZZNS0_12_GLOBAL__N_130modified_bessel_i0_kernel_cudaERNS_18TensorIteratorBaseEENKUlvE_clEvENKUlvE_clEvEUldE_NS0_6memory8policies11unroll_baseILi256ESt5arrayIPcLm2EE23TrivialOffsetCalculatorILi1EjESF_NS8_15LoadWithoutCastENS8_16StoreWithoutCastELi4ELi1EEEEEvT0_T1_.has_indirect_call)
	.section	.AMDGPU.csdata,"",@progbits
; Kernel info:
; codeLenInByte = 168
; TotalNumSgprs: 35
; NumVgprs: 38
; ScratchSize: 0
; MemoryBound: 0
; FloatMode: 240
; IeeeMode: 1
; LDSByteSize: 0 bytes/workgroup (compile time only)
; SGPRBlocks: 0
; VGPRBlocks: 4
; NumSGPRsForWavesPerEU: 35
; NumVGPRsForWavesPerEU: 38
; Occupancy: 16
; WaveLimiterHint : 0
; COMPUTE_PGM_RSRC2:SCRATCH_EN: 0
; COMPUTE_PGM_RSRC2:USER_SGPR: 6
; COMPUTE_PGM_RSRC2:TRAP_HANDLER: 0
; COMPUTE_PGM_RSRC2:TGID_X_EN: 1
; COMPUTE_PGM_RSRC2:TGID_Y_EN: 0
; COMPUTE_PGM_RSRC2:TGID_Z_EN: 0
; COMPUTE_PGM_RSRC2:TIDIG_COMP_CNT: 0
	.section	.text._ZN2at6native29vectorized_elementwise_kernelILi8EZZZNS0_12_GLOBAL__N_130modified_bessel_i0_kernel_cudaERNS_18TensorIteratorBaseEENKUlvE_clEvENKUlvE_clEvEUldE_St5arrayIPcLm2EEEEviT0_T1_,"axG",@progbits,_ZN2at6native29vectorized_elementwise_kernelILi8EZZZNS0_12_GLOBAL__N_130modified_bessel_i0_kernel_cudaERNS_18TensorIteratorBaseEENKUlvE_clEvENKUlvE_clEvEUldE_St5arrayIPcLm2EEEEviT0_T1_,comdat
	.globl	_ZN2at6native29vectorized_elementwise_kernelILi8EZZZNS0_12_GLOBAL__N_130modified_bessel_i0_kernel_cudaERNS_18TensorIteratorBaseEENKUlvE_clEvENKUlvE_clEvEUldE_St5arrayIPcLm2EEEEviT0_T1_ ; -- Begin function _ZN2at6native29vectorized_elementwise_kernelILi8EZZZNS0_12_GLOBAL__N_130modified_bessel_i0_kernel_cudaERNS_18TensorIteratorBaseEENKUlvE_clEvENKUlvE_clEvEUldE_St5arrayIPcLm2EEEEviT0_T1_
	.p2align	8
	.type	_ZN2at6native29vectorized_elementwise_kernelILi8EZZZNS0_12_GLOBAL__N_130modified_bessel_i0_kernel_cudaERNS_18TensorIteratorBaseEENKUlvE_clEvENKUlvE_clEvEUldE_St5arrayIPcLm2EEEEviT0_T1_,@function
_ZN2at6native29vectorized_elementwise_kernelILi8EZZZNS0_12_GLOBAL__N_130modified_bessel_i0_kernel_cudaERNS_18TensorIteratorBaseEENKUlvE_clEvENKUlvE_clEvEUldE_St5arrayIPcLm2EEEEviT0_T1_: ; @_ZN2at6native29vectorized_elementwise_kernelILi8EZZZNS0_12_GLOBAL__N_130modified_bessel_i0_kernel_cudaERNS_18TensorIteratorBaseEENKUlvE_clEvENKUlvE_clEvEUldE_St5arrayIPcLm2EEEEviT0_T1_
; %bb.0:
	s_mov_b32 s12, s6
	s_clause 0x1
	s_load_dword s6, s[4:5], 0x0
	s_load_dwordx4 s[16:19], s[4:5], 0x8
	s_add_u32 s0, s0, s7
	s_addc_u32 s1, s1, 0
	s_lshl_b32 s4, s12, 10
	v_mov_b32_e32 v31, v0
	s_mov_b32 s32, 0
	s_waitcnt lgkmcnt(0)
	s_sub_i32 s13, s6, s4
	s_mov_b32 s4, -1
	s_cmpk_gt_i32 s13, 0x3ff
	s_cbranch_scc1 .LBB3_3
; %bb.1:
	s_andn2_b32 vcc_lo, exec_lo, s4
	s_cbranch_vccz .LBB3_4
.LBB3_2:
	s_endpgm
.LBB3_3:
	v_mov_b32_e32 v0, s16
	v_mov_b32_e32 v1, s17
	;; [unrolled: 1-line block ×4, first 2 shown]
	s_getpc_b64 s[4:5]
	s_add_u32 s4, s4, _ZN2at6native25elementwise_kernel_helperILb0EZZZNS0_12_GLOBAL__N_130modified_bessel_i0_kernel_cudaERNS_18TensorIteratorBaseEENKUlvE_clEvENKUlvE_clEvEUldE_NS0_6memory8policies10vectorizedILi4ESt5arrayIPcLm2EELi4EEEEEvT0_T1_@rel32@lo+4
	s_addc_u32 s5, s5, _ZN2at6native25elementwise_kernel_helperILb0EZZZNS0_12_GLOBAL__N_130modified_bessel_i0_kernel_cudaERNS_18TensorIteratorBaseEENKUlvE_clEvENKUlvE_clEvEUldE_NS0_6memory8policies10vectorizedILi4ESt5arrayIPcLm2EELi4EEEEEvT0_T1_@rel32@hi+12
	s_swappc_b64 s[30:31], s[4:5]
	s_cbranch_execnz .LBB3_2
.LBB3_4:
	v_mov_b32_e32 v0, s16
	v_mov_b32_e32 v1, s17
	;; [unrolled: 1-line block ×5, first 2 shown]
	s_getpc_b64 s[4:5]
	s_add_u32 s4, s4, _ZN2at6native25elementwise_kernel_helperILb0EZZZNS0_12_GLOBAL__N_130modified_bessel_i0_kernel_cudaERNS_18TensorIteratorBaseEENKUlvE_clEvENKUlvE_clEvEUldE_NS0_6memory8policies11unroll_baseILi256ESt5arrayIPcLm2EE23TrivialOffsetCalculatorILi1EjESF_NS8_15LoadWithoutCastENS8_16StoreWithoutCastELi4ELi1EEEEEvT0_T1_@rel32@lo+4
	s_addc_u32 s5, s5, _ZN2at6native25elementwise_kernel_helperILb0EZZZNS0_12_GLOBAL__N_130modified_bessel_i0_kernel_cudaERNS_18TensorIteratorBaseEENKUlvE_clEvENKUlvE_clEvEUldE_NS0_6memory8policies11unroll_baseILi256ESt5arrayIPcLm2EE23TrivialOffsetCalculatorILi1EjESF_NS8_15LoadWithoutCastENS8_16StoreWithoutCastELi4ELi1EEEEEvT0_T1_@rel32@hi+12
	s_swappc_b64 s[30:31], s[4:5]
	s_endpgm
	.section	.rodata,"a",@progbits
	.p2align	6, 0x0
	.amdhsa_kernel _ZN2at6native29vectorized_elementwise_kernelILi8EZZZNS0_12_GLOBAL__N_130modified_bessel_i0_kernel_cudaERNS_18TensorIteratorBaseEENKUlvE_clEvENKUlvE_clEvEUldE_St5arrayIPcLm2EEEEviT0_T1_
		.amdhsa_group_segment_fixed_size 0
		.amdhsa_private_segment_fixed_size 0
		.amdhsa_kernarg_size 24
		.amdhsa_user_sgpr_count 6
		.amdhsa_user_sgpr_private_segment_buffer 1
		.amdhsa_user_sgpr_dispatch_ptr 0
		.amdhsa_user_sgpr_queue_ptr 0
		.amdhsa_user_sgpr_kernarg_segment_ptr 1
		.amdhsa_user_sgpr_dispatch_id 0
		.amdhsa_user_sgpr_flat_scratch_init 0
		.amdhsa_user_sgpr_private_segment_size 0
		.amdhsa_wavefront_size32 1
		.amdhsa_uses_dynamic_stack 0
		.amdhsa_system_sgpr_private_segment_wavefront_offset 0
		.amdhsa_system_sgpr_workgroup_id_x 1
		.amdhsa_system_sgpr_workgroup_id_y 0
		.amdhsa_system_sgpr_workgroup_id_z 0
		.amdhsa_system_sgpr_workgroup_info 0
		.amdhsa_system_vgpr_workitem_id 0
		.amdhsa_next_free_vgpr 38
		.amdhsa_next_free_sgpr 33
		.amdhsa_reserve_vcc 1
		.amdhsa_reserve_flat_scratch 1
		.amdhsa_float_round_mode_32 0
		.amdhsa_float_round_mode_16_64 0
		.amdhsa_float_denorm_mode_32 3
		.amdhsa_float_denorm_mode_16_64 3
		.amdhsa_dx10_clamp 1
		.amdhsa_ieee_mode 1
		.amdhsa_fp16_overflow 0
		.amdhsa_workgroup_processor_mode 1
		.amdhsa_memory_ordered 1
		.amdhsa_forward_progress 1
		.amdhsa_shared_vgpr_count 0
		.amdhsa_exception_fp_ieee_invalid_op 0
		.amdhsa_exception_fp_denorm_src 0
		.amdhsa_exception_fp_ieee_div_zero 0
		.amdhsa_exception_fp_ieee_overflow 0
		.amdhsa_exception_fp_ieee_underflow 0
		.amdhsa_exception_fp_ieee_inexact 0
		.amdhsa_exception_int_div_zero 0
	.end_amdhsa_kernel
	.section	.text._ZN2at6native29vectorized_elementwise_kernelILi8EZZZNS0_12_GLOBAL__N_130modified_bessel_i0_kernel_cudaERNS_18TensorIteratorBaseEENKUlvE_clEvENKUlvE_clEvEUldE_St5arrayIPcLm2EEEEviT0_T1_,"axG",@progbits,_ZN2at6native29vectorized_elementwise_kernelILi8EZZZNS0_12_GLOBAL__N_130modified_bessel_i0_kernel_cudaERNS_18TensorIteratorBaseEENKUlvE_clEvENKUlvE_clEvEUldE_St5arrayIPcLm2EEEEviT0_T1_,comdat
.Lfunc_end3:
	.size	_ZN2at6native29vectorized_elementwise_kernelILi8EZZZNS0_12_GLOBAL__N_130modified_bessel_i0_kernel_cudaERNS_18TensorIteratorBaseEENKUlvE_clEvENKUlvE_clEvEUldE_St5arrayIPcLm2EEEEviT0_T1_, .Lfunc_end3-_ZN2at6native29vectorized_elementwise_kernelILi8EZZZNS0_12_GLOBAL__N_130modified_bessel_i0_kernel_cudaERNS_18TensorIteratorBaseEENKUlvE_clEvENKUlvE_clEvEUldE_St5arrayIPcLm2EEEEviT0_T1_
                                        ; -- End function
	.set _ZN2at6native29vectorized_elementwise_kernelILi8EZZZNS0_12_GLOBAL__N_130modified_bessel_i0_kernel_cudaERNS_18TensorIteratorBaseEENKUlvE_clEvENKUlvE_clEvEUldE_St5arrayIPcLm2EEEEviT0_T1_.num_vgpr, max(32, .L_ZN2at6native25elementwise_kernel_helperILb0EZZZNS0_12_GLOBAL__N_130modified_bessel_i0_kernel_cudaERNS_18TensorIteratorBaseEENKUlvE_clEvENKUlvE_clEvEUldE_NS0_6memory8policies10vectorizedILi4ESt5arrayIPcLm2EELi4EEEEEvT0_T1_.num_vgpr, .L_ZN2at6native25elementwise_kernel_helperILb0EZZZNS0_12_GLOBAL__N_130modified_bessel_i0_kernel_cudaERNS_18TensorIteratorBaseEENKUlvE_clEvENKUlvE_clEvEUldE_NS0_6memory8policies11unroll_baseILi256ESt5arrayIPcLm2EE23TrivialOffsetCalculatorILi1EjESF_NS8_15LoadWithoutCastENS8_16StoreWithoutCastELi4ELi1EEEEEvT0_T1_.num_vgpr)
	.set _ZN2at6native29vectorized_elementwise_kernelILi8EZZZNS0_12_GLOBAL__N_130modified_bessel_i0_kernel_cudaERNS_18TensorIteratorBaseEENKUlvE_clEvENKUlvE_clEvEUldE_St5arrayIPcLm2EEEEviT0_T1_.num_agpr, max(0, .L_ZN2at6native25elementwise_kernel_helperILb0EZZZNS0_12_GLOBAL__N_130modified_bessel_i0_kernel_cudaERNS_18TensorIteratorBaseEENKUlvE_clEvENKUlvE_clEvEUldE_NS0_6memory8policies10vectorizedILi4ESt5arrayIPcLm2EELi4EEEEEvT0_T1_.num_agpr, .L_ZN2at6native25elementwise_kernel_helperILb0EZZZNS0_12_GLOBAL__N_130modified_bessel_i0_kernel_cudaERNS_18TensorIteratorBaseEENKUlvE_clEvENKUlvE_clEvEUldE_NS0_6memory8policies11unroll_baseILi256ESt5arrayIPcLm2EE23TrivialOffsetCalculatorILi1EjESF_NS8_15LoadWithoutCastENS8_16StoreWithoutCastELi4ELi1EEEEEvT0_T1_.num_agpr)
	.set _ZN2at6native29vectorized_elementwise_kernelILi8EZZZNS0_12_GLOBAL__N_130modified_bessel_i0_kernel_cudaERNS_18TensorIteratorBaseEENKUlvE_clEvENKUlvE_clEvEUldE_St5arrayIPcLm2EEEEviT0_T1_.numbered_sgpr, max(33, .L_ZN2at6native25elementwise_kernel_helperILb0EZZZNS0_12_GLOBAL__N_130modified_bessel_i0_kernel_cudaERNS_18TensorIteratorBaseEENKUlvE_clEvENKUlvE_clEvEUldE_NS0_6memory8policies10vectorizedILi4ESt5arrayIPcLm2EELi4EEEEEvT0_T1_.numbered_sgpr, .L_ZN2at6native25elementwise_kernel_helperILb0EZZZNS0_12_GLOBAL__N_130modified_bessel_i0_kernel_cudaERNS_18TensorIteratorBaseEENKUlvE_clEvENKUlvE_clEvEUldE_NS0_6memory8policies11unroll_baseILi256ESt5arrayIPcLm2EE23TrivialOffsetCalculatorILi1EjESF_NS8_15LoadWithoutCastENS8_16StoreWithoutCastELi4ELi1EEEEEvT0_T1_.numbered_sgpr)
	.set _ZN2at6native29vectorized_elementwise_kernelILi8EZZZNS0_12_GLOBAL__N_130modified_bessel_i0_kernel_cudaERNS_18TensorIteratorBaseEENKUlvE_clEvENKUlvE_clEvEUldE_St5arrayIPcLm2EEEEviT0_T1_.num_named_barrier, max(0, .L_ZN2at6native25elementwise_kernel_helperILb0EZZZNS0_12_GLOBAL__N_130modified_bessel_i0_kernel_cudaERNS_18TensorIteratorBaseEENKUlvE_clEvENKUlvE_clEvEUldE_NS0_6memory8policies10vectorizedILi4ESt5arrayIPcLm2EELi4EEEEEvT0_T1_.num_named_barrier, .L_ZN2at6native25elementwise_kernel_helperILb0EZZZNS0_12_GLOBAL__N_130modified_bessel_i0_kernel_cudaERNS_18TensorIteratorBaseEENKUlvE_clEvENKUlvE_clEvEUldE_NS0_6memory8policies11unroll_baseILi256ESt5arrayIPcLm2EE23TrivialOffsetCalculatorILi1EjESF_NS8_15LoadWithoutCastENS8_16StoreWithoutCastELi4ELi1EEEEEvT0_T1_.num_named_barrier)
	.set _ZN2at6native29vectorized_elementwise_kernelILi8EZZZNS0_12_GLOBAL__N_130modified_bessel_i0_kernel_cudaERNS_18TensorIteratorBaseEENKUlvE_clEvENKUlvE_clEvEUldE_St5arrayIPcLm2EEEEviT0_T1_.private_seg_size, 0+max(.L_ZN2at6native25elementwise_kernel_helperILb0EZZZNS0_12_GLOBAL__N_130modified_bessel_i0_kernel_cudaERNS_18TensorIteratorBaseEENKUlvE_clEvENKUlvE_clEvEUldE_NS0_6memory8policies10vectorizedILi4ESt5arrayIPcLm2EELi4EEEEEvT0_T1_.private_seg_size, .L_ZN2at6native25elementwise_kernel_helperILb0EZZZNS0_12_GLOBAL__N_130modified_bessel_i0_kernel_cudaERNS_18TensorIteratorBaseEENKUlvE_clEvENKUlvE_clEvEUldE_NS0_6memory8policies11unroll_baseILi256ESt5arrayIPcLm2EE23TrivialOffsetCalculatorILi1EjESF_NS8_15LoadWithoutCastENS8_16StoreWithoutCastELi4ELi1EEEEEvT0_T1_.private_seg_size)
	.set _ZN2at6native29vectorized_elementwise_kernelILi8EZZZNS0_12_GLOBAL__N_130modified_bessel_i0_kernel_cudaERNS_18TensorIteratorBaseEENKUlvE_clEvENKUlvE_clEvEUldE_St5arrayIPcLm2EEEEviT0_T1_.uses_vcc, or(1, .L_ZN2at6native25elementwise_kernel_helperILb0EZZZNS0_12_GLOBAL__N_130modified_bessel_i0_kernel_cudaERNS_18TensorIteratorBaseEENKUlvE_clEvENKUlvE_clEvEUldE_NS0_6memory8policies10vectorizedILi4ESt5arrayIPcLm2EELi4EEEEEvT0_T1_.uses_vcc, .L_ZN2at6native25elementwise_kernel_helperILb0EZZZNS0_12_GLOBAL__N_130modified_bessel_i0_kernel_cudaERNS_18TensorIteratorBaseEENKUlvE_clEvENKUlvE_clEvEUldE_NS0_6memory8policies11unroll_baseILi256ESt5arrayIPcLm2EE23TrivialOffsetCalculatorILi1EjESF_NS8_15LoadWithoutCastENS8_16StoreWithoutCastELi4ELi1EEEEEvT0_T1_.uses_vcc)
	.set _ZN2at6native29vectorized_elementwise_kernelILi8EZZZNS0_12_GLOBAL__N_130modified_bessel_i0_kernel_cudaERNS_18TensorIteratorBaseEENKUlvE_clEvENKUlvE_clEvEUldE_St5arrayIPcLm2EEEEviT0_T1_.uses_flat_scratch, or(0, .L_ZN2at6native25elementwise_kernel_helperILb0EZZZNS0_12_GLOBAL__N_130modified_bessel_i0_kernel_cudaERNS_18TensorIteratorBaseEENKUlvE_clEvENKUlvE_clEvEUldE_NS0_6memory8policies10vectorizedILi4ESt5arrayIPcLm2EELi4EEEEEvT0_T1_.uses_flat_scratch, .L_ZN2at6native25elementwise_kernel_helperILb0EZZZNS0_12_GLOBAL__N_130modified_bessel_i0_kernel_cudaERNS_18TensorIteratorBaseEENKUlvE_clEvENKUlvE_clEvEUldE_NS0_6memory8policies11unroll_baseILi256ESt5arrayIPcLm2EE23TrivialOffsetCalculatorILi1EjESF_NS8_15LoadWithoutCastENS8_16StoreWithoutCastELi4ELi1EEEEEvT0_T1_.uses_flat_scratch)
	.set _ZN2at6native29vectorized_elementwise_kernelILi8EZZZNS0_12_GLOBAL__N_130modified_bessel_i0_kernel_cudaERNS_18TensorIteratorBaseEENKUlvE_clEvENKUlvE_clEvEUldE_St5arrayIPcLm2EEEEviT0_T1_.has_dyn_sized_stack, or(0, .L_ZN2at6native25elementwise_kernel_helperILb0EZZZNS0_12_GLOBAL__N_130modified_bessel_i0_kernel_cudaERNS_18TensorIteratorBaseEENKUlvE_clEvENKUlvE_clEvEUldE_NS0_6memory8policies10vectorizedILi4ESt5arrayIPcLm2EELi4EEEEEvT0_T1_.has_dyn_sized_stack, .L_ZN2at6native25elementwise_kernel_helperILb0EZZZNS0_12_GLOBAL__N_130modified_bessel_i0_kernel_cudaERNS_18TensorIteratorBaseEENKUlvE_clEvENKUlvE_clEvEUldE_NS0_6memory8policies11unroll_baseILi256ESt5arrayIPcLm2EE23TrivialOffsetCalculatorILi1EjESF_NS8_15LoadWithoutCastENS8_16StoreWithoutCastELi4ELi1EEEEEvT0_T1_.has_dyn_sized_stack)
	.set _ZN2at6native29vectorized_elementwise_kernelILi8EZZZNS0_12_GLOBAL__N_130modified_bessel_i0_kernel_cudaERNS_18TensorIteratorBaseEENKUlvE_clEvENKUlvE_clEvEUldE_St5arrayIPcLm2EEEEviT0_T1_.has_recursion, or(0, .L_ZN2at6native25elementwise_kernel_helperILb0EZZZNS0_12_GLOBAL__N_130modified_bessel_i0_kernel_cudaERNS_18TensorIteratorBaseEENKUlvE_clEvENKUlvE_clEvEUldE_NS0_6memory8policies10vectorizedILi4ESt5arrayIPcLm2EELi4EEEEEvT0_T1_.has_recursion, .L_ZN2at6native25elementwise_kernel_helperILb0EZZZNS0_12_GLOBAL__N_130modified_bessel_i0_kernel_cudaERNS_18TensorIteratorBaseEENKUlvE_clEvENKUlvE_clEvEUldE_NS0_6memory8policies11unroll_baseILi256ESt5arrayIPcLm2EE23TrivialOffsetCalculatorILi1EjESF_NS8_15LoadWithoutCastENS8_16StoreWithoutCastELi4ELi1EEEEEvT0_T1_.has_recursion)
	.set _ZN2at6native29vectorized_elementwise_kernelILi8EZZZNS0_12_GLOBAL__N_130modified_bessel_i0_kernel_cudaERNS_18TensorIteratorBaseEENKUlvE_clEvENKUlvE_clEvEUldE_St5arrayIPcLm2EEEEviT0_T1_.has_indirect_call, or(0, .L_ZN2at6native25elementwise_kernel_helperILb0EZZZNS0_12_GLOBAL__N_130modified_bessel_i0_kernel_cudaERNS_18TensorIteratorBaseEENKUlvE_clEvENKUlvE_clEvEUldE_NS0_6memory8policies10vectorizedILi4ESt5arrayIPcLm2EELi4EEEEEvT0_T1_.has_indirect_call, .L_ZN2at6native25elementwise_kernel_helperILb0EZZZNS0_12_GLOBAL__N_130modified_bessel_i0_kernel_cudaERNS_18TensorIteratorBaseEENKUlvE_clEvENKUlvE_clEvEUldE_NS0_6memory8policies11unroll_baseILi256ESt5arrayIPcLm2EE23TrivialOffsetCalculatorILi1EjESF_NS8_15LoadWithoutCastENS8_16StoreWithoutCastELi4ELi1EEEEEvT0_T1_.has_indirect_call)
	.section	.AMDGPU.csdata,"",@progbits
; Kernel info:
; codeLenInByte = 168
; TotalNumSgprs: 35
; NumVgprs: 38
; ScratchSize: 0
; MemoryBound: 0
; FloatMode: 240
; IeeeMode: 1
; LDSByteSize: 0 bytes/workgroup (compile time only)
; SGPRBlocks: 0
; VGPRBlocks: 4
; NumSGPRsForWavesPerEU: 35
; NumVGPRsForWavesPerEU: 38
; Occupancy: 16
; WaveLimiterHint : 0
; COMPUTE_PGM_RSRC2:SCRATCH_EN: 0
; COMPUTE_PGM_RSRC2:USER_SGPR: 6
; COMPUTE_PGM_RSRC2:TRAP_HANDLER: 0
; COMPUTE_PGM_RSRC2:TGID_X_EN: 1
; COMPUTE_PGM_RSRC2:TGID_Y_EN: 0
; COMPUTE_PGM_RSRC2:TGID_Z_EN: 0
; COMPUTE_PGM_RSRC2:TIDIG_COMP_CNT: 0
	.section	.text._ZN2at6native29vectorized_elementwise_kernelILi4EZZZNS0_12_GLOBAL__N_130modified_bessel_i0_kernel_cudaERNS_18TensorIteratorBaseEENKUlvE_clEvENKUlvE_clEvEUldE_St5arrayIPcLm2EEEEviT0_T1_,"axG",@progbits,_ZN2at6native29vectorized_elementwise_kernelILi4EZZZNS0_12_GLOBAL__N_130modified_bessel_i0_kernel_cudaERNS_18TensorIteratorBaseEENKUlvE_clEvENKUlvE_clEvEUldE_St5arrayIPcLm2EEEEviT0_T1_,comdat
	.globl	_ZN2at6native29vectorized_elementwise_kernelILi4EZZZNS0_12_GLOBAL__N_130modified_bessel_i0_kernel_cudaERNS_18TensorIteratorBaseEENKUlvE_clEvENKUlvE_clEvEUldE_St5arrayIPcLm2EEEEviT0_T1_ ; -- Begin function _ZN2at6native29vectorized_elementwise_kernelILi4EZZZNS0_12_GLOBAL__N_130modified_bessel_i0_kernel_cudaERNS_18TensorIteratorBaseEENKUlvE_clEvENKUlvE_clEvEUldE_St5arrayIPcLm2EEEEviT0_T1_
	.p2align	8
	.type	_ZN2at6native29vectorized_elementwise_kernelILi4EZZZNS0_12_GLOBAL__N_130modified_bessel_i0_kernel_cudaERNS_18TensorIteratorBaseEENKUlvE_clEvENKUlvE_clEvEUldE_St5arrayIPcLm2EEEEviT0_T1_,@function
_ZN2at6native29vectorized_elementwise_kernelILi4EZZZNS0_12_GLOBAL__N_130modified_bessel_i0_kernel_cudaERNS_18TensorIteratorBaseEENKUlvE_clEvENKUlvE_clEvEUldE_St5arrayIPcLm2EEEEviT0_T1_: ; @_ZN2at6native29vectorized_elementwise_kernelILi4EZZZNS0_12_GLOBAL__N_130modified_bessel_i0_kernel_cudaERNS_18TensorIteratorBaseEENKUlvE_clEvENKUlvE_clEvEUldE_St5arrayIPcLm2EEEEviT0_T1_
; %bb.0:
	s_mov_b32 s12, s6
	s_clause 0x1
	s_load_dword s6, s[4:5], 0x0
	s_load_dwordx4 s[16:19], s[4:5], 0x8
	s_add_u32 s0, s0, s7
	s_addc_u32 s1, s1, 0
	s_lshl_b32 s4, s12, 10
	v_mov_b32_e32 v31, v0
	s_mov_b32 s32, 0
	s_waitcnt lgkmcnt(0)
	s_sub_i32 s13, s6, s4
	s_mov_b32 s4, -1
	s_cmpk_gt_i32 s13, 0x3ff
	s_cbranch_scc1 .LBB4_3
; %bb.1:
	s_andn2_b32 vcc_lo, exec_lo, s4
	s_cbranch_vccz .LBB4_4
.LBB4_2:
	s_endpgm
.LBB4_3:
	v_mov_b32_e32 v0, s16
	v_mov_b32_e32 v1, s17
	;; [unrolled: 1-line block ×4, first 2 shown]
	s_getpc_b64 s[4:5]
	s_add_u32 s4, s4, _ZN2at6native25elementwise_kernel_helperILb0EZZZNS0_12_GLOBAL__N_130modified_bessel_i0_kernel_cudaERNS_18TensorIteratorBaseEENKUlvE_clEvENKUlvE_clEvEUldE_NS0_6memory8policies10vectorizedILi4ESt5arrayIPcLm2EELi4EEEEEvT0_T1_@rel32@lo+4
	s_addc_u32 s5, s5, _ZN2at6native25elementwise_kernel_helperILb0EZZZNS0_12_GLOBAL__N_130modified_bessel_i0_kernel_cudaERNS_18TensorIteratorBaseEENKUlvE_clEvENKUlvE_clEvEUldE_NS0_6memory8policies10vectorizedILi4ESt5arrayIPcLm2EELi4EEEEEvT0_T1_@rel32@hi+12
	s_swappc_b64 s[30:31], s[4:5]
	s_cbranch_execnz .LBB4_2
.LBB4_4:
	v_mov_b32_e32 v0, s16
	v_mov_b32_e32 v1, s17
	;; [unrolled: 1-line block ×5, first 2 shown]
	s_getpc_b64 s[4:5]
	s_add_u32 s4, s4, _ZN2at6native25elementwise_kernel_helperILb0EZZZNS0_12_GLOBAL__N_130modified_bessel_i0_kernel_cudaERNS_18TensorIteratorBaseEENKUlvE_clEvENKUlvE_clEvEUldE_NS0_6memory8policies11unroll_baseILi256ESt5arrayIPcLm2EE23TrivialOffsetCalculatorILi1EjESF_NS8_15LoadWithoutCastENS8_16StoreWithoutCastELi4ELi1EEEEEvT0_T1_@rel32@lo+4
	s_addc_u32 s5, s5, _ZN2at6native25elementwise_kernel_helperILb0EZZZNS0_12_GLOBAL__N_130modified_bessel_i0_kernel_cudaERNS_18TensorIteratorBaseEENKUlvE_clEvENKUlvE_clEvEUldE_NS0_6memory8policies11unroll_baseILi256ESt5arrayIPcLm2EE23TrivialOffsetCalculatorILi1EjESF_NS8_15LoadWithoutCastENS8_16StoreWithoutCastELi4ELi1EEEEEvT0_T1_@rel32@hi+12
	s_swappc_b64 s[30:31], s[4:5]
	s_endpgm
	.section	.rodata,"a",@progbits
	.p2align	6, 0x0
	.amdhsa_kernel _ZN2at6native29vectorized_elementwise_kernelILi4EZZZNS0_12_GLOBAL__N_130modified_bessel_i0_kernel_cudaERNS_18TensorIteratorBaseEENKUlvE_clEvENKUlvE_clEvEUldE_St5arrayIPcLm2EEEEviT0_T1_
		.amdhsa_group_segment_fixed_size 0
		.amdhsa_private_segment_fixed_size 0
		.amdhsa_kernarg_size 24
		.amdhsa_user_sgpr_count 6
		.amdhsa_user_sgpr_private_segment_buffer 1
		.amdhsa_user_sgpr_dispatch_ptr 0
		.amdhsa_user_sgpr_queue_ptr 0
		.amdhsa_user_sgpr_kernarg_segment_ptr 1
		.amdhsa_user_sgpr_dispatch_id 0
		.amdhsa_user_sgpr_flat_scratch_init 0
		.amdhsa_user_sgpr_private_segment_size 0
		.amdhsa_wavefront_size32 1
		.amdhsa_uses_dynamic_stack 0
		.amdhsa_system_sgpr_private_segment_wavefront_offset 0
		.amdhsa_system_sgpr_workgroup_id_x 1
		.amdhsa_system_sgpr_workgroup_id_y 0
		.amdhsa_system_sgpr_workgroup_id_z 0
		.amdhsa_system_sgpr_workgroup_info 0
		.amdhsa_system_vgpr_workitem_id 0
		.amdhsa_next_free_vgpr 38
		.amdhsa_next_free_sgpr 33
		.amdhsa_reserve_vcc 1
		.amdhsa_reserve_flat_scratch 1
		.amdhsa_float_round_mode_32 0
		.amdhsa_float_round_mode_16_64 0
		.amdhsa_float_denorm_mode_32 3
		.amdhsa_float_denorm_mode_16_64 3
		.amdhsa_dx10_clamp 1
		.amdhsa_ieee_mode 1
		.amdhsa_fp16_overflow 0
		.amdhsa_workgroup_processor_mode 1
		.amdhsa_memory_ordered 1
		.amdhsa_forward_progress 1
		.amdhsa_shared_vgpr_count 0
		.amdhsa_exception_fp_ieee_invalid_op 0
		.amdhsa_exception_fp_denorm_src 0
		.amdhsa_exception_fp_ieee_div_zero 0
		.amdhsa_exception_fp_ieee_overflow 0
		.amdhsa_exception_fp_ieee_underflow 0
		.amdhsa_exception_fp_ieee_inexact 0
		.amdhsa_exception_int_div_zero 0
	.end_amdhsa_kernel
	.section	.text._ZN2at6native29vectorized_elementwise_kernelILi4EZZZNS0_12_GLOBAL__N_130modified_bessel_i0_kernel_cudaERNS_18TensorIteratorBaseEENKUlvE_clEvENKUlvE_clEvEUldE_St5arrayIPcLm2EEEEviT0_T1_,"axG",@progbits,_ZN2at6native29vectorized_elementwise_kernelILi4EZZZNS0_12_GLOBAL__N_130modified_bessel_i0_kernel_cudaERNS_18TensorIteratorBaseEENKUlvE_clEvENKUlvE_clEvEUldE_St5arrayIPcLm2EEEEviT0_T1_,comdat
.Lfunc_end4:
	.size	_ZN2at6native29vectorized_elementwise_kernelILi4EZZZNS0_12_GLOBAL__N_130modified_bessel_i0_kernel_cudaERNS_18TensorIteratorBaseEENKUlvE_clEvENKUlvE_clEvEUldE_St5arrayIPcLm2EEEEviT0_T1_, .Lfunc_end4-_ZN2at6native29vectorized_elementwise_kernelILi4EZZZNS0_12_GLOBAL__N_130modified_bessel_i0_kernel_cudaERNS_18TensorIteratorBaseEENKUlvE_clEvENKUlvE_clEvEUldE_St5arrayIPcLm2EEEEviT0_T1_
                                        ; -- End function
	.set _ZN2at6native29vectorized_elementwise_kernelILi4EZZZNS0_12_GLOBAL__N_130modified_bessel_i0_kernel_cudaERNS_18TensorIteratorBaseEENKUlvE_clEvENKUlvE_clEvEUldE_St5arrayIPcLm2EEEEviT0_T1_.num_vgpr, max(32, .L_ZN2at6native25elementwise_kernel_helperILb0EZZZNS0_12_GLOBAL__N_130modified_bessel_i0_kernel_cudaERNS_18TensorIteratorBaseEENKUlvE_clEvENKUlvE_clEvEUldE_NS0_6memory8policies10vectorizedILi4ESt5arrayIPcLm2EELi4EEEEEvT0_T1_.num_vgpr, .L_ZN2at6native25elementwise_kernel_helperILb0EZZZNS0_12_GLOBAL__N_130modified_bessel_i0_kernel_cudaERNS_18TensorIteratorBaseEENKUlvE_clEvENKUlvE_clEvEUldE_NS0_6memory8policies11unroll_baseILi256ESt5arrayIPcLm2EE23TrivialOffsetCalculatorILi1EjESF_NS8_15LoadWithoutCastENS8_16StoreWithoutCastELi4ELi1EEEEEvT0_T1_.num_vgpr)
	.set _ZN2at6native29vectorized_elementwise_kernelILi4EZZZNS0_12_GLOBAL__N_130modified_bessel_i0_kernel_cudaERNS_18TensorIteratorBaseEENKUlvE_clEvENKUlvE_clEvEUldE_St5arrayIPcLm2EEEEviT0_T1_.num_agpr, max(0, .L_ZN2at6native25elementwise_kernel_helperILb0EZZZNS0_12_GLOBAL__N_130modified_bessel_i0_kernel_cudaERNS_18TensorIteratorBaseEENKUlvE_clEvENKUlvE_clEvEUldE_NS0_6memory8policies10vectorizedILi4ESt5arrayIPcLm2EELi4EEEEEvT0_T1_.num_agpr, .L_ZN2at6native25elementwise_kernel_helperILb0EZZZNS0_12_GLOBAL__N_130modified_bessel_i0_kernel_cudaERNS_18TensorIteratorBaseEENKUlvE_clEvENKUlvE_clEvEUldE_NS0_6memory8policies11unroll_baseILi256ESt5arrayIPcLm2EE23TrivialOffsetCalculatorILi1EjESF_NS8_15LoadWithoutCastENS8_16StoreWithoutCastELi4ELi1EEEEEvT0_T1_.num_agpr)
	.set _ZN2at6native29vectorized_elementwise_kernelILi4EZZZNS0_12_GLOBAL__N_130modified_bessel_i0_kernel_cudaERNS_18TensorIteratorBaseEENKUlvE_clEvENKUlvE_clEvEUldE_St5arrayIPcLm2EEEEviT0_T1_.numbered_sgpr, max(33, .L_ZN2at6native25elementwise_kernel_helperILb0EZZZNS0_12_GLOBAL__N_130modified_bessel_i0_kernel_cudaERNS_18TensorIteratorBaseEENKUlvE_clEvENKUlvE_clEvEUldE_NS0_6memory8policies10vectorizedILi4ESt5arrayIPcLm2EELi4EEEEEvT0_T1_.numbered_sgpr, .L_ZN2at6native25elementwise_kernel_helperILb0EZZZNS0_12_GLOBAL__N_130modified_bessel_i0_kernel_cudaERNS_18TensorIteratorBaseEENKUlvE_clEvENKUlvE_clEvEUldE_NS0_6memory8policies11unroll_baseILi256ESt5arrayIPcLm2EE23TrivialOffsetCalculatorILi1EjESF_NS8_15LoadWithoutCastENS8_16StoreWithoutCastELi4ELi1EEEEEvT0_T1_.numbered_sgpr)
	.set _ZN2at6native29vectorized_elementwise_kernelILi4EZZZNS0_12_GLOBAL__N_130modified_bessel_i0_kernel_cudaERNS_18TensorIteratorBaseEENKUlvE_clEvENKUlvE_clEvEUldE_St5arrayIPcLm2EEEEviT0_T1_.num_named_barrier, max(0, .L_ZN2at6native25elementwise_kernel_helperILb0EZZZNS0_12_GLOBAL__N_130modified_bessel_i0_kernel_cudaERNS_18TensorIteratorBaseEENKUlvE_clEvENKUlvE_clEvEUldE_NS0_6memory8policies10vectorizedILi4ESt5arrayIPcLm2EELi4EEEEEvT0_T1_.num_named_barrier, .L_ZN2at6native25elementwise_kernel_helperILb0EZZZNS0_12_GLOBAL__N_130modified_bessel_i0_kernel_cudaERNS_18TensorIteratorBaseEENKUlvE_clEvENKUlvE_clEvEUldE_NS0_6memory8policies11unroll_baseILi256ESt5arrayIPcLm2EE23TrivialOffsetCalculatorILi1EjESF_NS8_15LoadWithoutCastENS8_16StoreWithoutCastELi4ELi1EEEEEvT0_T1_.num_named_barrier)
	.set _ZN2at6native29vectorized_elementwise_kernelILi4EZZZNS0_12_GLOBAL__N_130modified_bessel_i0_kernel_cudaERNS_18TensorIteratorBaseEENKUlvE_clEvENKUlvE_clEvEUldE_St5arrayIPcLm2EEEEviT0_T1_.private_seg_size, 0+max(.L_ZN2at6native25elementwise_kernel_helperILb0EZZZNS0_12_GLOBAL__N_130modified_bessel_i0_kernel_cudaERNS_18TensorIteratorBaseEENKUlvE_clEvENKUlvE_clEvEUldE_NS0_6memory8policies10vectorizedILi4ESt5arrayIPcLm2EELi4EEEEEvT0_T1_.private_seg_size, .L_ZN2at6native25elementwise_kernel_helperILb0EZZZNS0_12_GLOBAL__N_130modified_bessel_i0_kernel_cudaERNS_18TensorIteratorBaseEENKUlvE_clEvENKUlvE_clEvEUldE_NS0_6memory8policies11unroll_baseILi256ESt5arrayIPcLm2EE23TrivialOffsetCalculatorILi1EjESF_NS8_15LoadWithoutCastENS8_16StoreWithoutCastELi4ELi1EEEEEvT0_T1_.private_seg_size)
	.set _ZN2at6native29vectorized_elementwise_kernelILi4EZZZNS0_12_GLOBAL__N_130modified_bessel_i0_kernel_cudaERNS_18TensorIteratorBaseEENKUlvE_clEvENKUlvE_clEvEUldE_St5arrayIPcLm2EEEEviT0_T1_.uses_vcc, or(1, .L_ZN2at6native25elementwise_kernel_helperILb0EZZZNS0_12_GLOBAL__N_130modified_bessel_i0_kernel_cudaERNS_18TensorIteratorBaseEENKUlvE_clEvENKUlvE_clEvEUldE_NS0_6memory8policies10vectorizedILi4ESt5arrayIPcLm2EELi4EEEEEvT0_T1_.uses_vcc, .L_ZN2at6native25elementwise_kernel_helperILb0EZZZNS0_12_GLOBAL__N_130modified_bessel_i0_kernel_cudaERNS_18TensorIteratorBaseEENKUlvE_clEvENKUlvE_clEvEUldE_NS0_6memory8policies11unroll_baseILi256ESt5arrayIPcLm2EE23TrivialOffsetCalculatorILi1EjESF_NS8_15LoadWithoutCastENS8_16StoreWithoutCastELi4ELi1EEEEEvT0_T1_.uses_vcc)
	.set _ZN2at6native29vectorized_elementwise_kernelILi4EZZZNS0_12_GLOBAL__N_130modified_bessel_i0_kernel_cudaERNS_18TensorIteratorBaseEENKUlvE_clEvENKUlvE_clEvEUldE_St5arrayIPcLm2EEEEviT0_T1_.uses_flat_scratch, or(0, .L_ZN2at6native25elementwise_kernel_helperILb0EZZZNS0_12_GLOBAL__N_130modified_bessel_i0_kernel_cudaERNS_18TensorIteratorBaseEENKUlvE_clEvENKUlvE_clEvEUldE_NS0_6memory8policies10vectorizedILi4ESt5arrayIPcLm2EELi4EEEEEvT0_T1_.uses_flat_scratch, .L_ZN2at6native25elementwise_kernel_helperILb0EZZZNS0_12_GLOBAL__N_130modified_bessel_i0_kernel_cudaERNS_18TensorIteratorBaseEENKUlvE_clEvENKUlvE_clEvEUldE_NS0_6memory8policies11unroll_baseILi256ESt5arrayIPcLm2EE23TrivialOffsetCalculatorILi1EjESF_NS8_15LoadWithoutCastENS8_16StoreWithoutCastELi4ELi1EEEEEvT0_T1_.uses_flat_scratch)
	.set _ZN2at6native29vectorized_elementwise_kernelILi4EZZZNS0_12_GLOBAL__N_130modified_bessel_i0_kernel_cudaERNS_18TensorIteratorBaseEENKUlvE_clEvENKUlvE_clEvEUldE_St5arrayIPcLm2EEEEviT0_T1_.has_dyn_sized_stack, or(0, .L_ZN2at6native25elementwise_kernel_helperILb0EZZZNS0_12_GLOBAL__N_130modified_bessel_i0_kernel_cudaERNS_18TensorIteratorBaseEENKUlvE_clEvENKUlvE_clEvEUldE_NS0_6memory8policies10vectorizedILi4ESt5arrayIPcLm2EELi4EEEEEvT0_T1_.has_dyn_sized_stack, .L_ZN2at6native25elementwise_kernel_helperILb0EZZZNS0_12_GLOBAL__N_130modified_bessel_i0_kernel_cudaERNS_18TensorIteratorBaseEENKUlvE_clEvENKUlvE_clEvEUldE_NS0_6memory8policies11unroll_baseILi256ESt5arrayIPcLm2EE23TrivialOffsetCalculatorILi1EjESF_NS8_15LoadWithoutCastENS8_16StoreWithoutCastELi4ELi1EEEEEvT0_T1_.has_dyn_sized_stack)
	.set _ZN2at6native29vectorized_elementwise_kernelILi4EZZZNS0_12_GLOBAL__N_130modified_bessel_i0_kernel_cudaERNS_18TensorIteratorBaseEENKUlvE_clEvENKUlvE_clEvEUldE_St5arrayIPcLm2EEEEviT0_T1_.has_recursion, or(0, .L_ZN2at6native25elementwise_kernel_helperILb0EZZZNS0_12_GLOBAL__N_130modified_bessel_i0_kernel_cudaERNS_18TensorIteratorBaseEENKUlvE_clEvENKUlvE_clEvEUldE_NS0_6memory8policies10vectorizedILi4ESt5arrayIPcLm2EELi4EEEEEvT0_T1_.has_recursion, .L_ZN2at6native25elementwise_kernel_helperILb0EZZZNS0_12_GLOBAL__N_130modified_bessel_i0_kernel_cudaERNS_18TensorIteratorBaseEENKUlvE_clEvENKUlvE_clEvEUldE_NS0_6memory8policies11unroll_baseILi256ESt5arrayIPcLm2EE23TrivialOffsetCalculatorILi1EjESF_NS8_15LoadWithoutCastENS8_16StoreWithoutCastELi4ELi1EEEEEvT0_T1_.has_recursion)
	.set _ZN2at6native29vectorized_elementwise_kernelILi4EZZZNS0_12_GLOBAL__N_130modified_bessel_i0_kernel_cudaERNS_18TensorIteratorBaseEENKUlvE_clEvENKUlvE_clEvEUldE_St5arrayIPcLm2EEEEviT0_T1_.has_indirect_call, or(0, .L_ZN2at6native25elementwise_kernel_helperILb0EZZZNS0_12_GLOBAL__N_130modified_bessel_i0_kernel_cudaERNS_18TensorIteratorBaseEENKUlvE_clEvENKUlvE_clEvEUldE_NS0_6memory8policies10vectorizedILi4ESt5arrayIPcLm2EELi4EEEEEvT0_T1_.has_indirect_call, .L_ZN2at6native25elementwise_kernel_helperILb0EZZZNS0_12_GLOBAL__N_130modified_bessel_i0_kernel_cudaERNS_18TensorIteratorBaseEENKUlvE_clEvENKUlvE_clEvEUldE_NS0_6memory8policies11unroll_baseILi256ESt5arrayIPcLm2EE23TrivialOffsetCalculatorILi1EjESF_NS8_15LoadWithoutCastENS8_16StoreWithoutCastELi4ELi1EEEEEvT0_T1_.has_indirect_call)
	.section	.AMDGPU.csdata,"",@progbits
; Kernel info:
; codeLenInByte = 168
; TotalNumSgprs: 35
; NumVgprs: 38
; ScratchSize: 0
; MemoryBound: 0
; FloatMode: 240
; IeeeMode: 1
; LDSByteSize: 0 bytes/workgroup (compile time only)
; SGPRBlocks: 0
; VGPRBlocks: 4
; NumSGPRsForWavesPerEU: 35
; NumVGPRsForWavesPerEU: 38
; Occupancy: 16
; WaveLimiterHint : 0
; COMPUTE_PGM_RSRC2:SCRATCH_EN: 0
; COMPUTE_PGM_RSRC2:USER_SGPR: 6
; COMPUTE_PGM_RSRC2:TRAP_HANDLER: 0
; COMPUTE_PGM_RSRC2:TGID_X_EN: 1
; COMPUTE_PGM_RSRC2:TGID_Y_EN: 0
; COMPUTE_PGM_RSRC2:TGID_Z_EN: 0
; COMPUTE_PGM_RSRC2:TIDIG_COMP_CNT: 0
	.section	.text._ZN2at6native29vectorized_elementwise_kernelILi2EZZZNS0_12_GLOBAL__N_130modified_bessel_i0_kernel_cudaERNS_18TensorIteratorBaseEENKUlvE_clEvENKUlvE_clEvEUldE_St5arrayIPcLm2EEEEviT0_T1_,"axG",@progbits,_ZN2at6native29vectorized_elementwise_kernelILi2EZZZNS0_12_GLOBAL__N_130modified_bessel_i0_kernel_cudaERNS_18TensorIteratorBaseEENKUlvE_clEvENKUlvE_clEvEUldE_St5arrayIPcLm2EEEEviT0_T1_,comdat
	.globl	_ZN2at6native29vectorized_elementwise_kernelILi2EZZZNS0_12_GLOBAL__N_130modified_bessel_i0_kernel_cudaERNS_18TensorIteratorBaseEENKUlvE_clEvENKUlvE_clEvEUldE_St5arrayIPcLm2EEEEviT0_T1_ ; -- Begin function _ZN2at6native29vectorized_elementwise_kernelILi2EZZZNS0_12_GLOBAL__N_130modified_bessel_i0_kernel_cudaERNS_18TensorIteratorBaseEENKUlvE_clEvENKUlvE_clEvEUldE_St5arrayIPcLm2EEEEviT0_T1_
	.p2align	8
	.type	_ZN2at6native29vectorized_elementwise_kernelILi2EZZZNS0_12_GLOBAL__N_130modified_bessel_i0_kernel_cudaERNS_18TensorIteratorBaseEENKUlvE_clEvENKUlvE_clEvEUldE_St5arrayIPcLm2EEEEviT0_T1_,@function
_ZN2at6native29vectorized_elementwise_kernelILi2EZZZNS0_12_GLOBAL__N_130modified_bessel_i0_kernel_cudaERNS_18TensorIteratorBaseEENKUlvE_clEvENKUlvE_clEvEUldE_St5arrayIPcLm2EEEEviT0_T1_: ; @_ZN2at6native29vectorized_elementwise_kernelILi2EZZZNS0_12_GLOBAL__N_130modified_bessel_i0_kernel_cudaERNS_18TensorIteratorBaseEENKUlvE_clEvENKUlvE_clEvEUldE_St5arrayIPcLm2EEEEviT0_T1_
; %bb.0:
	s_add_u32 s0, s0, s7
	s_clause 0x1
	s_load_dword s7, s[4:5], 0x0
	s_load_dwordx4 s[8:11], s[4:5], 0x8
	s_addc_u32 s1, s1, 0
	s_lshl_b32 s4, s6, 10
	s_mov_b32 s5, -1
	s_mov_b32 s32, 0
	s_waitcnt lgkmcnt(0)
	s_sub_i32 s7, s7, s4
	s_cmpk_gt_i32 s7, 0x3ff
	s_cbranch_scc1 .LBB5_3
; %bb.1:
	s_and_b32 vcc_lo, exec_lo, s5
	s_cbranch_vccnz .LBB5_20
.LBB5_2:
	s_endpgm
.LBB5_3:
	s_ashr_i32 s5, s4, 31
	v_lshlrev_b32_e32 v13, 4, v0
	s_lshl_b64 s[12:13], s[4:5], 3
                                        ; implicit-def: $vgpr5_vgpr6
	s_add_u32 s4, s10, s12
	s_addc_u32 s5, s11, s13
	global_load_dwordx4 v[7:10], v13, s[4:5]
	v_add_co_u32 v1, s4, s4, v13
	v_add_co_ci_u32_e64 v2, null, s5, 0, s4
	v_add_co_u32 v1, vcc_lo, 0x1000, v1
	v_add_co_ci_u32_e64 v2, null, 0, v2, vcc_lo
	global_load_dwordx4 v[1:4], v[1:2], off
	s_waitcnt vmcnt(1)
	v_cmp_ge_f64_e64 s4, 0x40200000, |v[7:8]|
	s_and_saveexec_b32 s5, s4
	s_xor_b32 s4, exec_lo, s5
	s_cbranch_execz .LBB5_5
; %bb.4:
	v_fma_f64 v[5:6], |v[7:8]|, 0.5, -2.0
	s_mov_b32 s14, 0x977da589
	s_mov_b32 s15, 0x3c833362
	;; [unrolled: 1-line block ×4, first 2 shown]
	v_fma_f64 v[11:12], v[5:6], s[16:17], s[14:15]
	s_mov_b32 s17, 0x3c545cb7
	s_mov_b32 s14, 0x721ebbb4
	;; [unrolled: 1-line block ×3, first 2 shown]
	v_fma_f64 v[14:15], v[5:6], v[11:12], s[16:17]
	s_mov_b32 s16, 0x3b39803f
	s_mov_b32 s17, 0xbc7abc9e
	v_add_f64 v[14:15], v[14:15], s[14:15]
	s_mov_b32 s14, 0x93f65eba
	s_mov_b32 s15, 0x3cdee6d8
	v_fma_f64 v[11:12], v[5:6], v[14:15], -v[11:12]
	v_add_f64 v[11:12], v[11:12], s[14:15]
	s_mov_b32 s14, 0xc297fbeb
	s_mov_b32 s15, 0xbd0a5022
	v_fma_f64 v[14:15], v[5:6], v[11:12], -v[14:15]
	;; [unrolled: 4-line block ×20, first 2 shown]
	v_add_f64 v[14:15], v[14:15], s[14:15]
	s_mov_b32 s14, 0x652b82fe
	s_mov_b32 s15, 0x3ff71547
	v_mul_f64 v[16:17], |v[7:8]|, s[14:15]
	s_mov_b32 s14, 0xf3dde3dd
	s_mov_b32 s15, 0x3f859961
	v_fma_f64 v[11:12], v[5:6], v[14:15], -v[11:12]
	v_rndne_f64_e32 v[16:17], v[16:17]
	v_add_f64 v[11:12], v[11:12], s[14:15]
	s_mov_b32 s14, 0xfefa39ef
	s_mov_b32 s15, 0xbfe62e42
	v_fma_f64 v[7:8], v[16:17], s[14:15], |v[7:8]|
	s_mov_b32 s14, 0xf121b6f0
	s_mov_b32 s15, 0xbf984e9e
	v_fma_f64 v[14:15], v[5:6], v[11:12], -v[14:15]
	v_fma_f64 v[7:8], v[16:17], s[16:17], v[7:8]
	s_mov_b32 s16, 0x6a5dcb37
	s_mov_b32 s17, 0x3e5ade15
	v_add_f64 v[14:15], v[14:15], s[14:15]
	s_mov_b32 s14, 0xfca7ab0c
	s_mov_b32 s15, 0x3e928af3
	v_fma_f64 v[18:19], v[7:8], s[16:17], s[14:15]
	s_mov_b32 s14, 0xcea8a32d
	s_mov_b32 s16, 0x623fde64
	;; [unrolled: 1-line block ×4, first 2 shown]
	v_fma_f64 v[11:12], v[5:6], v[14:15], -v[11:12]
	v_fma_f64 v[18:19], v[7:8], v[18:19], s[16:17]
	s_mov_b32 s16, 0x14761f6e
	s_mov_b32 s17, 0x3f2a01a0
	v_add_f64 v[11:12], v[11:12], s[14:15]
	s_mov_b32 s14, 0x7c89e6b0
	s_mov_b32 s15, 0x3efa0199
	v_fma_f64 v[18:19], v[7:8], v[18:19], s[14:15]
	s_mov_b32 s14, 0x342d06ea
	s_mov_b32 s15, 0xbfb84b70
	v_fma_f64 v[14:15], v[5:6], v[11:12], -v[14:15]
	v_fma_f64 v[18:19], v[7:8], v[18:19], s[16:17]
	s_mov_b32 s16, 0x11122322
	s_mov_b32 s17, 0x3f811111
	v_add_f64 v[14:15], v[14:15], s[14:15]
	s_mov_b32 s14, 0x1852b7b0
	s_mov_b32 s15, 0x3f56c16c
	v_fma_f64 v[18:19], v[7:8], v[18:19], s[14:15]
	s_mov_b32 s14, 0x77ac88c0
	s_mov_b32 s15, 0x3fc5f7ac
	;; [unrolled: 10-line block ×3, first 2 shown]
	v_fma_f64 v[14:15], v[5:6], v[11:12], -v[14:15]
	v_fma_f64 v[18:19], v[7:8], v[18:19], s[16:17]
	v_add_f64 v[14:15], v[14:15], s[14:15]
	s_mov_b32 s14, 11
	s_mov_b32 s15, 0x3fe00000
	v_fma_f64 v[18:19], v[7:8], v[18:19], s[14:15]
	s_mov_b32 s14, 0x9035a22a
	s_mov_b32 s15, 0x3fe5a84e
	v_fma_f64 v[5:6], v[5:6], v[14:15], -v[11:12]
	v_fma_f64 v[14:15], v[7:8], v[18:19], 1.0
	v_add_f64 v[5:6], v[5:6], s[14:15]
	v_fma_f64 v[7:8], v[7:8], v[14:15], 1.0
	v_cvt_i32_f64_e32 v14, v[16:17]
	v_add_f64 v[5:6], v[5:6], -v[11:12]
	v_ldexp_f64 v[7:8], v[7:8], v14
	v_mul_f64 v[5:6], v[5:6], 0.5
	v_mul_f64 v[5:6], v[7:8], v[5:6]
.LBB5_5:
	s_andn2_saveexec_b32 s5, s4
	s_cbranch_execz .LBB5_7
; %bb.6:
	v_and_b32_e32 v6, 0x7fffffff, v8
	v_mov_b32_e32 v5, v7
	s_mov_b32 s14, 0x66119130
	s_mov_b32 s15, 0xbc5646da
	;; [unrolled: 1-line block ×4, first 2 shown]
	v_div_scale_f64 v[11:12], null, v[5:6], v[5:6], 0x40400000
	v_div_scale_f64 v[5:6], vcc_lo, 0x40400000, v[5:6], 0x40400000
	v_cmp_gt_f64_e64 s4, 0x10000000, |v[7:8]|
	v_rcp_f64_e32 v[14:15], v[11:12]
	v_cndmask_b32_e64 v22, 0, 0x100, s4
	v_ldexp_f64 v[22:23], |v[7:8]|, v22
	v_fma_f64 v[16:17], -v[11:12], v[14:15], 1.0
	v_rsq_f64_e32 v[24:25], v[22:23]
	v_fma_f64 v[14:15], v[14:15], v[16:17], v[14:15]
	v_mul_f64 v[26:27], v[22:23], v[24:25]
	v_mul_f64 v[24:25], v[24:25], 0.5
	v_fma_f64 v[16:17], -v[11:12], v[14:15], 1.0
	v_fma_f64 v[28:29], -v[24:25], v[26:27], 0.5
	v_fma_f64 v[14:15], v[14:15], v[16:17], v[14:15]
	v_fma_f64 v[26:27], v[26:27], v[28:29], v[26:27]
	v_fma_f64 v[24:25], v[24:25], v[28:29], v[24:25]
	v_mul_f64 v[16:17], v[5:6], v[14:15]
	v_fma_f64 v[28:29], -v[26:27], v[26:27], v[22:23]
	v_fma_f64 v[5:6], -v[11:12], v[16:17], v[5:6]
	v_div_fmas_f64 v[5:6], v[5:6], v[14:15], v[16:17]
	v_cmp_nlt_f64_e64 vcc_lo, 0x40900000, |v[7:8]|
	v_div_fixup_f64 v[5:6], v[5:6], |v[7:8]|, 0x40400000
	v_add_f64 v[5:6], v[5:6], -2.0
	v_fma_f64 v[11:12], v[5:6], s[16:17], s[14:15]
	s_mov_b32 s17, 0x3c60adb7
	s_mov_b32 s14, 0x12d98421
	;; [unrolled: 1-line block ×3, first 2 shown]
	v_fma_f64 v[14:15], v[5:6], v[11:12], s[16:17]
	s_mov_b32 s16, 0x6a5dcb37
	s_mov_b32 s17, 0x3e5ade15
	v_add_f64 v[14:15], v[14:15], s[14:15]
	s_mov_b32 s14, 0x76041cd
	s_mov_b32 s15, 0x3c83f3dd
	v_fma_f64 v[11:12], v[5:6], v[14:15], -v[11:12]
	v_add_f64 v[11:12], v[11:12], s[14:15]
	s_mov_b32 s14, 0xabd21fe4
	s_mov_b32 s15, 0xbcb4600b
	v_fma_f64 v[14:15], v[5:6], v[11:12], -v[14:15]
	;; [unrolled: 4-line block ×15, first 2 shown]
	v_add_f64 v[11:12], v[11:12], s[14:15]
	s_mov_b32 s14, 0x652b82fe
	s_mov_b32 s15, 0x3ff71547
	v_mul_f64 v[16:17], |v[7:8]|, s[14:15]
	s_mov_b32 s14, 0xa9225b87
	s_mov_b32 s15, 0x3e2d2c64
	v_fma_f64 v[14:15], v[5:6], v[11:12], -v[14:15]
	v_rndne_f64_e32 v[16:17], v[16:17]
	v_add_f64 v[14:15], v[14:15], s[14:15]
	s_mov_b32 s14, 0xfefa39ef
	s_mov_b32 s15, 0xbfe62e42
	v_fma_f64 v[18:19], v[16:17], s[14:15], |v[7:8]|
	s_mov_b32 s14, 0x3b39803f
	s_mov_b32 s15, 0xbc7abc9e
	v_cndmask_b32_e64 v7, 0, 0xffffff80, s4
	v_cmp_class_f64_e64 s4, v[22:23], 0x260
	v_fma_f64 v[11:12], v[5:6], v[14:15], -v[11:12]
	v_fma_f64 v[18:19], v[16:17], s[14:15], v[18:19]
	s_mov_b32 s14, 0x80d6d56d
	s_mov_b32 s15, 0x3e585692
	v_add_f64 v[11:12], v[11:12], s[14:15]
	s_mov_b32 s14, 0xfca7ab0c
	s_mov_b32 s15, 0x3e928af3
	v_fma_f64 v[20:21], v[18:19], s[16:17], s[14:15]
	s_mov_b32 s14, 0x623fde64
	s_mov_b32 s15, 0x3ec71dee
	v_fma_f64 v[14:15], v[5:6], v[11:12], -v[14:15]
	v_fma_f64 v[20:21], v[18:19], v[20:21], s[14:15]
	s_mov_b32 s14, 0xd9cd616e
	s_mov_b32 s15, 0x3e8b8007
	v_add_f64 v[14:15], v[14:15], s[14:15]
	s_mov_b32 s14, 0x7c89e6b0
	s_mov_b32 s15, 0x3efa0199
	v_fma_f64 v[20:21], v[18:19], v[20:21], s[14:15]
	s_mov_b32 s14, 0x14761f6e
	s_mov_b32 s15, 0x3f2a01a0
	v_fma_f64 v[11:12], v[5:6], v[14:15], -v[11:12]
	v_fma_f64 v[20:21], v[18:19], v[20:21], s[14:15]
	s_mov_b32 s14, 0xc101c586
	s_mov_b32 s15, 0x3ec8412b
	v_add_f64 v[11:12], v[11:12], s[14:15]
	s_mov_b32 s14, 0x1852b7b0
	s_mov_b32 s15, 0x3f56c16c
	v_fma_f64 v[20:21], v[18:19], v[20:21], s[14:15]
	s_mov_b32 s14, 0x11122322
	s_mov_b32 s15, 0x3f811111
	v_fma_f64 v[14:15], v[5:6], v[11:12], -v[14:15]
	v_fma_f64 v[20:21], v[18:19], v[20:21], s[14:15]
	s_mov_b32 s14, 0x78999e52
	s_mov_b32 s15, 0x3f120fa3
	v_add_f64 v[14:15], v[14:15], s[14:15]
	s_mov_b32 s14, 0x555502a1
	s_mov_b32 s15, 0x3fa55555
	v_fma_f64 v[20:21], v[18:19], v[20:21], s[14:15]
	s_mov_b32 s14, 0x55555511
	s_mov_b32 s15, 0x3fc55555
	v_fma_f64 v[11:12], v[5:6], v[14:15], -v[11:12]
	v_fma_f64 v[20:21], v[18:19], v[20:21], s[14:15]
	s_mov_b32 s14, 0xa2e59049
	s_mov_b32 s15, 0x3f6b998c
	v_add_f64 v[11:12], v[11:12], s[14:15]
	s_mov_b32 s14, 11
	s_mov_b32 s15, 0x3fe00000
	v_fma_f64 v[20:21], v[18:19], v[20:21], s[14:15]
	s_mov_b32 s14, 0xaca809cb
	s_mov_b32 s15, 0x3fe9be62
	v_fma_f64 v[5:6], v[5:6], v[11:12], -v[14:15]
	v_fma_f64 v[11:12], v[28:29], v[24:25], v[26:27]
	v_cvt_i32_f64_e32 v28, v[16:17]
	v_fma_f64 v[20:21], v[18:19], v[20:21], 1.0
	v_add_f64 v[5:6], v[5:6], s[14:15]
	v_fma_f64 v[26:27], -v[11:12], v[11:12], v[22:23]
	v_fma_f64 v[16:17], v[18:19], v[20:21], 1.0
	v_add_f64 v[5:6], v[5:6], -v[14:15]
	v_fma_f64 v[11:12], v[26:27], v[24:25], v[11:12]
	v_ldexp_f64 v[14:15], v[16:17], v28
	v_mul_f64 v[5:6], v[5:6], 0.5
	v_ldexp_f64 v[7:8], v[11:12], v7
	v_cndmask_b32_e32 v12, 0x7ff00000, v15, vcc_lo
	v_cndmask_b32_e32 v11, 0, v14, vcc_lo
	v_mul_f64 v[5:6], v[11:12], v[5:6]
	v_cndmask_b32_e64 v8, v8, v23, s4
	v_cndmask_b32_e64 v7, v7, v22, s4
	v_div_scale_f64 v[11:12], null, v[7:8], v[7:8], v[5:6]
	v_rcp_f64_e32 v[14:15], v[11:12]
	v_fma_f64 v[16:17], -v[11:12], v[14:15], 1.0
	v_fma_f64 v[14:15], v[14:15], v[16:17], v[14:15]
	v_fma_f64 v[16:17], -v[11:12], v[14:15], 1.0
	v_fma_f64 v[14:15], v[14:15], v[16:17], v[14:15]
	v_div_scale_f64 v[16:17], vcc_lo, v[5:6], v[7:8], v[5:6]
	v_mul_f64 v[18:19], v[16:17], v[14:15]
	v_fma_f64 v[11:12], -v[11:12], v[18:19], v[16:17]
	v_div_fmas_f64 v[11:12], v[11:12], v[14:15], v[18:19]
	v_div_fixup_f64 v[5:6], v[11:12], v[7:8], v[5:6]
.LBB5_7:
	s_or_b32 exec_lo, exec_lo, s5
	v_cmp_ge_f64_e64 s4, 0x40200000, |v[9:10]|
	s_and_saveexec_b32 s5, s4
	s_xor_b32 s4, exec_lo, s5
	s_cbranch_execz .LBB5_9
; %bb.8:
	v_fma_f64 v[7:8], |v[9:10]|, 0.5, -2.0
	s_mov_b32 s14, 0x977da589
	s_mov_b32 s15, 0x3c833362
	;; [unrolled: 1-line block ×4, first 2 shown]
	v_fma_f64 v[11:12], v[7:8], s[16:17], s[14:15]
	s_mov_b32 s17, 0x3c545cb7
	s_mov_b32 s14, 0x721ebbb4
	;; [unrolled: 1-line block ×3, first 2 shown]
	v_fma_f64 v[14:15], v[7:8], v[11:12], s[16:17]
	s_mov_b32 s16, 0x3b39803f
	s_mov_b32 s17, 0xbc7abc9e
	v_add_f64 v[14:15], v[14:15], s[14:15]
	s_mov_b32 s14, 0x93f65eba
	s_mov_b32 s15, 0x3cdee6d8
	v_fma_f64 v[11:12], v[7:8], v[14:15], -v[11:12]
	v_add_f64 v[11:12], v[11:12], s[14:15]
	s_mov_b32 s14, 0xc297fbeb
	s_mov_b32 s15, 0xbd0a5022
	v_fma_f64 v[14:15], v[7:8], v[11:12], -v[14:15]
	;; [unrolled: 4-line block ×20, first 2 shown]
	v_add_f64 v[14:15], v[14:15], s[14:15]
	s_mov_b32 s14, 0x652b82fe
	s_mov_b32 s15, 0x3ff71547
	v_mul_f64 v[16:17], |v[9:10]|, s[14:15]
	s_mov_b32 s14, 0xf3dde3dd
	s_mov_b32 s15, 0x3f859961
	v_fma_f64 v[11:12], v[7:8], v[14:15], -v[11:12]
	v_rndne_f64_e32 v[16:17], v[16:17]
	v_add_f64 v[11:12], v[11:12], s[14:15]
	s_mov_b32 s14, 0xfefa39ef
	s_mov_b32 s15, 0xbfe62e42
	v_fma_f64 v[9:10], v[16:17], s[14:15], |v[9:10]|
	s_mov_b32 s14, 0xf121b6f0
	s_mov_b32 s15, 0xbf984e9e
	v_fma_f64 v[14:15], v[7:8], v[11:12], -v[14:15]
	v_fma_f64 v[9:10], v[16:17], s[16:17], v[9:10]
	s_mov_b32 s16, 0x6a5dcb37
	s_mov_b32 s17, 0x3e5ade15
	v_add_f64 v[14:15], v[14:15], s[14:15]
	s_mov_b32 s14, 0xfca7ab0c
	s_mov_b32 s15, 0x3e928af3
	v_fma_f64 v[18:19], v[9:10], s[16:17], s[14:15]
	s_mov_b32 s14, 0xcea8a32d
	s_mov_b32 s16, 0x623fde64
	;; [unrolled: 1-line block ×4, first 2 shown]
	v_fma_f64 v[11:12], v[7:8], v[14:15], -v[11:12]
	v_fma_f64 v[18:19], v[9:10], v[18:19], s[16:17]
	s_mov_b32 s16, 0x14761f6e
	s_mov_b32 s17, 0x3f2a01a0
	v_add_f64 v[11:12], v[11:12], s[14:15]
	s_mov_b32 s14, 0x7c89e6b0
	s_mov_b32 s15, 0x3efa0199
	v_fma_f64 v[18:19], v[9:10], v[18:19], s[14:15]
	s_mov_b32 s14, 0x342d06ea
	s_mov_b32 s15, 0xbfb84b70
	v_fma_f64 v[14:15], v[7:8], v[11:12], -v[14:15]
	v_fma_f64 v[18:19], v[9:10], v[18:19], s[16:17]
	s_mov_b32 s16, 0x11122322
	s_mov_b32 s17, 0x3f811111
	v_add_f64 v[14:15], v[14:15], s[14:15]
	s_mov_b32 s14, 0x1852b7b0
	s_mov_b32 s15, 0x3f56c16c
	v_fma_f64 v[18:19], v[9:10], v[18:19], s[14:15]
	s_mov_b32 s14, 0x77ac88c0
	s_mov_b32 s15, 0x3fc5f7ac
	;; [unrolled: 10-line block ×3, first 2 shown]
	v_fma_f64 v[14:15], v[7:8], v[11:12], -v[14:15]
	v_fma_f64 v[18:19], v[9:10], v[18:19], s[16:17]
	v_add_f64 v[14:15], v[14:15], s[14:15]
	s_mov_b32 s14, 11
	s_mov_b32 s15, 0x3fe00000
	v_fma_f64 v[18:19], v[9:10], v[18:19], s[14:15]
	s_mov_b32 s14, 0x9035a22a
	s_mov_b32 s15, 0x3fe5a84e
	v_fma_f64 v[7:8], v[7:8], v[14:15], -v[11:12]
	v_fma_f64 v[14:15], v[9:10], v[18:19], 1.0
	v_add_f64 v[7:8], v[7:8], s[14:15]
	v_fma_f64 v[9:10], v[9:10], v[14:15], 1.0
	v_cvt_i32_f64_e32 v14, v[16:17]
	v_add_f64 v[7:8], v[7:8], -v[11:12]
	v_ldexp_f64 v[9:10], v[9:10], v14
	v_mul_f64 v[7:8], v[7:8], 0.5
	v_mul_f64 v[7:8], v[9:10], v[7:8]
                                        ; implicit-def: $vgpr9_vgpr10
.LBB5_9:
	s_andn2_saveexec_b32 s5, s4
	s_cbranch_execz .LBB5_11
; %bb.10:
	v_and_b32_e32 v8, 0x7fffffff, v10
	v_mov_b32_e32 v7, v9
	s_mov_b32 s14, 0x66119130
	s_mov_b32 s15, 0xbc5646da
	;; [unrolled: 1-line block ×4, first 2 shown]
	v_div_scale_f64 v[11:12], null, v[7:8], v[7:8], 0x40400000
	v_div_scale_f64 v[7:8], vcc_lo, 0x40400000, v[7:8], 0x40400000
	v_cmp_gt_f64_e64 s4, 0x10000000, |v[9:10]|
	v_rcp_f64_e32 v[14:15], v[11:12]
	v_cndmask_b32_e64 v22, 0, 0x100, s4
	v_ldexp_f64 v[22:23], |v[9:10]|, v22
	v_fma_f64 v[16:17], -v[11:12], v[14:15], 1.0
	v_rsq_f64_e32 v[24:25], v[22:23]
	v_fma_f64 v[14:15], v[14:15], v[16:17], v[14:15]
	v_mul_f64 v[26:27], v[22:23], v[24:25]
	v_mul_f64 v[24:25], v[24:25], 0.5
	v_fma_f64 v[16:17], -v[11:12], v[14:15], 1.0
	v_fma_f64 v[28:29], -v[24:25], v[26:27], 0.5
	v_fma_f64 v[14:15], v[14:15], v[16:17], v[14:15]
	v_fma_f64 v[26:27], v[26:27], v[28:29], v[26:27]
	;; [unrolled: 1-line block ×3, first 2 shown]
	v_mul_f64 v[16:17], v[7:8], v[14:15]
	v_fma_f64 v[28:29], -v[26:27], v[26:27], v[22:23]
	v_fma_f64 v[7:8], -v[11:12], v[16:17], v[7:8]
	v_div_fmas_f64 v[7:8], v[7:8], v[14:15], v[16:17]
	v_cmp_nlt_f64_e64 vcc_lo, 0x40900000, |v[9:10]|
	v_div_fixup_f64 v[7:8], v[7:8], |v[9:10]|, 0x40400000
	v_add_f64 v[7:8], v[7:8], -2.0
	v_fma_f64 v[11:12], v[7:8], s[16:17], s[14:15]
	s_mov_b32 s17, 0x3c60adb7
	s_mov_b32 s14, 0x12d98421
	;; [unrolled: 1-line block ×3, first 2 shown]
	v_fma_f64 v[14:15], v[7:8], v[11:12], s[16:17]
	s_mov_b32 s16, 0x6a5dcb37
	s_mov_b32 s17, 0x3e5ade15
	v_add_f64 v[14:15], v[14:15], s[14:15]
	s_mov_b32 s14, 0x76041cd
	s_mov_b32 s15, 0x3c83f3dd
	v_fma_f64 v[11:12], v[7:8], v[14:15], -v[11:12]
	v_add_f64 v[11:12], v[11:12], s[14:15]
	s_mov_b32 s14, 0xabd21fe4
	s_mov_b32 s15, 0xbcb4600b
	v_fma_f64 v[14:15], v[7:8], v[11:12], -v[14:15]
	;; [unrolled: 4-line block ×15, first 2 shown]
	v_add_f64 v[11:12], v[11:12], s[14:15]
	s_mov_b32 s14, 0x652b82fe
	s_mov_b32 s15, 0x3ff71547
	v_mul_f64 v[16:17], |v[9:10]|, s[14:15]
	s_mov_b32 s14, 0xa9225b87
	s_mov_b32 s15, 0x3e2d2c64
	v_fma_f64 v[14:15], v[7:8], v[11:12], -v[14:15]
	v_rndne_f64_e32 v[16:17], v[16:17]
	v_add_f64 v[14:15], v[14:15], s[14:15]
	s_mov_b32 s14, 0xfefa39ef
	s_mov_b32 s15, 0xbfe62e42
	v_fma_f64 v[18:19], v[16:17], s[14:15], |v[9:10]|
	s_mov_b32 s14, 0x3b39803f
	s_mov_b32 s15, 0xbc7abc9e
	v_cndmask_b32_e64 v9, 0, 0xffffff80, s4
	v_cmp_class_f64_e64 s4, v[22:23], 0x260
	v_fma_f64 v[11:12], v[7:8], v[14:15], -v[11:12]
	v_fma_f64 v[18:19], v[16:17], s[14:15], v[18:19]
	s_mov_b32 s14, 0x80d6d56d
	s_mov_b32 s15, 0x3e585692
	v_add_f64 v[11:12], v[11:12], s[14:15]
	s_mov_b32 s14, 0xfca7ab0c
	s_mov_b32 s15, 0x3e928af3
	v_fma_f64 v[20:21], v[18:19], s[16:17], s[14:15]
	s_mov_b32 s14, 0x623fde64
	s_mov_b32 s15, 0x3ec71dee
	v_fma_f64 v[14:15], v[7:8], v[11:12], -v[14:15]
	v_fma_f64 v[20:21], v[18:19], v[20:21], s[14:15]
	s_mov_b32 s14, 0xd9cd616e
	s_mov_b32 s15, 0x3e8b8007
	v_add_f64 v[14:15], v[14:15], s[14:15]
	s_mov_b32 s14, 0x7c89e6b0
	s_mov_b32 s15, 0x3efa0199
	v_fma_f64 v[20:21], v[18:19], v[20:21], s[14:15]
	s_mov_b32 s14, 0x14761f6e
	s_mov_b32 s15, 0x3f2a01a0
	;; [unrolled: 10-line block ×5, first 2 shown]
	v_fma_f64 v[7:8], v[7:8], v[11:12], -v[14:15]
	v_fma_f64 v[11:12], v[28:29], v[24:25], v[26:27]
	v_cvt_i32_f64_e32 v28, v[16:17]
	v_fma_f64 v[20:21], v[18:19], v[20:21], 1.0
	v_add_f64 v[7:8], v[7:8], s[14:15]
	v_fma_f64 v[26:27], -v[11:12], v[11:12], v[22:23]
	v_fma_f64 v[16:17], v[18:19], v[20:21], 1.0
	v_add_f64 v[7:8], v[7:8], -v[14:15]
	v_fma_f64 v[11:12], v[26:27], v[24:25], v[11:12]
	v_ldexp_f64 v[14:15], v[16:17], v28
	v_mul_f64 v[7:8], v[7:8], 0.5
	v_ldexp_f64 v[9:10], v[11:12], v9
	v_cndmask_b32_e32 v12, 0x7ff00000, v15, vcc_lo
	v_cndmask_b32_e32 v11, 0, v14, vcc_lo
	v_mul_f64 v[7:8], v[11:12], v[7:8]
	v_cndmask_b32_e64 v10, v10, v23, s4
	v_cndmask_b32_e64 v9, v9, v22, s4
	v_div_scale_f64 v[11:12], null, v[9:10], v[9:10], v[7:8]
	v_rcp_f64_e32 v[14:15], v[11:12]
	v_fma_f64 v[16:17], -v[11:12], v[14:15], 1.0
	v_fma_f64 v[14:15], v[14:15], v[16:17], v[14:15]
	v_fma_f64 v[16:17], -v[11:12], v[14:15], 1.0
	v_fma_f64 v[14:15], v[14:15], v[16:17], v[14:15]
	v_div_scale_f64 v[16:17], vcc_lo, v[7:8], v[9:10], v[7:8]
	v_mul_f64 v[18:19], v[16:17], v[14:15]
	v_fma_f64 v[11:12], -v[11:12], v[18:19], v[16:17]
	v_div_fmas_f64 v[11:12], v[11:12], v[14:15], v[18:19]
	v_div_fixup_f64 v[7:8], v[11:12], v[9:10], v[7:8]
.LBB5_11:
	s_or_b32 exec_lo, exec_lo, s5
	s_waitcnt vmcnt(0)
	v_cmp_ge_f64_e64 s4, 0x40200000, |v[1:2]|
                                        ; implicit-def: $vgpr9_vgpr10
	s_and_saveexec_b32 s5, s4
	s_xor_b32 s4, exec_lo, s5
	s_cbranch_execz .LBB5_13
; %bb.12:
	v_fma_f64 v[9:10], |v[1:2]|, 0.5, -2.0
	s_mov_b32 s14, 0x977da589
	s_mov_b32 s15, 0x3c833362
	;; [unrolled: 1-line block ×4, first 2 shown]
	v_fma_f64 v[11:12], v[9:10], s[16:17], s[14:15]
	s_mov_b32 s17, 0x3c545cb7
	s_mov_b32 s14, 0x721ebbb4
	;; [unrolled: 1-line block ×3, first 2 shown]
	v_fma_f64 v[14:15], v[9:10], v[11:12], s[16:17]
	s_mov_b32 s16, 0x3b39803f
	s_mov_b32 s17, 0xbc7abc9e
	v_add_f64 v[14:15], v[14:15], s[14:15]
	s_mov_b32 s14, 0x93f65eba
	s_mov_b32 s15, 0x3cdee6d8
	v_fma_f64 v[11:12], v[9:10], v[14:15], -v[11:12]
	v_add_f64 v[11:12], v[11:12], s[14:15]
	s_mov_b32 s14, 0xc297fbeb
	s_mov_b32 s15, 0xbd0a5022
	v_fma_f64 v[14:15], v[9:10], v[11:12], -v[14:15]
	;; [unrolled: 4-line block ×20, first 2 shown]
	v_add_f64 v[14:15], v[14:15], s[14:15]
	s_mov_b32 s14, 0x652b82fe
	s_mov_b32 s15, 0x3ff71547
	v_mul_f64 v[16:17], |v[1:2]|, s[14:15]
	s_mov_b32 s14, 0xf3dde3dd
	s_mov_b32 s15, 0x3f859961
	v_fma_f64 v[11:12], v[9:10], v[14:15], -v[11:12]
	v_rndne_f64_e32 v[16:17], v[16:17]
	v_add_f64 v[11:12], v[11:12], s[14:15]
	s_mov_b32 s14, 0xfefa39ef
	s_mov_b32 s15, 0xbfe62e42
	v_fma_f64 v[1:2], v[16:17], s[14:15], |v[1:2]|
	s_mov_b32 s14, 0xf121b6f0
	s_mov_b32 s15, 0xbf984e9e
	v_fma_f64 v[14:15], v[9:10], v[11:12], -v[14:15]
	v_fma_f64 v[1:2], v[16:17], s[16:17], v[1:2]
	s_mov_b32 s16, 0x6a5dcb37
	s_mov_b32 s17, 0x3e5ade15
	v_add_f64 v[14:15], v[14:15], s[14:15]
	s_mov_b32 s14, 0xfca7ab0c
	s_mov_b32 s15, 0x3e928af3
	v_fma_f64 v[18:19], v[1:2], s[16:17], s[14:15]
	s_mov_b32 s14, 0xcea8a32d
	s_mov_b32 s16, 0x623fde64
	s_mov_b32 s15, 0x3fa93e8a
	s_mov_b32 s17, 0x3ec71dee
	v_fma_f64 v[11:12], v[9:10], v[14:15], -v[11:12]
	v_fma_f64 v[18:19], v[1:2], v[18:19], s[16:17]
	s_mov_b32 s16, 0x14761f6e
	s_mov_b32 s17, 0x3f2a01a0
	v_add_f64 v[11:12], v[11:12], s[14:15]
	s_mov_b32 s14, 0x7c89e6b0
	s_mov_b32 s15, 0x3efa0199
	v_fma_f64 v[18:19], v[1:2], v[18:19], s[14:15]
	s_mov_b32 s14, 0x342d06ea
	s_mov_b32 s15, 0xbfb84b70
	v_fma_f64 v[14:15], v[9:10], v[11:12], -v[14:15]
	v_fma_f64 v[18:19], v[1:2], v[18:19], s[16:17]
	s_mov_b32 s16, 0x11122322
	s_mov_b32 s17, 0x3f811111
	v_add_f64 v[14:15], v[14:15], s[14:15]
	s_mov_b32 s14, 0x1852b7b0
	s_mov_b32 s15, 0x3f56c16c
	v_fma_f64 v[18:19], v[1:2], v[18:19], s[14:15]
	s_mov_b32 s14, 0x77ac88c0
	s_mov_b32 s15, 0x3fc5f7ac
	;; [unrolled: 10-line block ×3, first 2 shown]
	v_fma_f64 v[14:15], v[9:10], v[11:12], -v[14:15]
	v_fma_f64 v[18:19], v[1:2], v[18:19], s[16:17]
	v_add_f64 v[14:15], v[14:15], s[14:15]
	s_mov_b32 s14, 11
	s_mov_b32 s15, 0x3fe00000
	v_fma_f64 v[18:19], v[1:2], v[18:19], s[14:15]
	s_mov_b32 s14, 0x9035a22a
	s_mov_b32 s15, 0x3fe5a84e
	v_fma_f64 v[9:10], v[9:10], v[14:15], -v[11:12]
	v_fma_f64 v[14:15], v[1:2], v[18:19], 1.0
	v_add_f64 v[9:10], v[9:10], s[14:15]
	v_fma_f64 v[1:2], v[1:2], v[14:15], 1.0
	v_cvt_i32_f64_e32 v14, v[16:17]
	v_add_f64 v[9:10], v[9:10], -v[11:12]
	v_ldexp_f64 v[1:2], v[1:2], v14
	v_mul_f64 v[9:10], v[9:10], 0.5
	v_mul_f64 v[9:10], v[1:2], v[9:10]
.LBB5_13:
	s_andn2_saveexec_b32 s5, s4
	s_cbranch_execz .LBB5_15
; %bb.14:
	v_and_b32_e32 v10, 0x7fffffff, v2
	v_mov_b32_e32 v9, v1
	s_mov_b32 s14, 0x66119130
	s_mov_b32 s15, 0xbc5646da
	;; [unrolled: 1-line block ×4, first 2 shown]
	v_div_scale_f64 v[11:12], null, v[9:10], v[9:10], 0x40400000
	v_div_scale_f64 v[9:10], vcc_lo, 0x40400000, v[9:10], 0x40400000
	v_cmp_gt_f64_e64 s4, 0x10000000, |v[1:2]|
	v_rcp_f64_e32 v[14:15], v[11:12]
	v_cndmask_b32_e64 v22, 0, 0x100, s4
	v_ldexp_f64 v[22:23], |v[1:2]|, v22
	v_fma_f64 v[16:17], -v[11:12], v[14:15], 1.0
	v_rsq_f64_e32 v[24:25], v[22:23]
	v_fma_f64 v[14:15], v[14:15], v[16:17], v[14:15]
	v_mul_f64 v[26:27], v[22:23], v[24:25]
	v_mul_f64 v[24:25], v[24:25], 0.5
	v_fma_f64 v[16:17], -v[11:12], v[14:15], 1.0
	v_fma_f64 v[28:29], -v[24:25], v[26:27], 0.5
	v_fma_f64 v[14:15], v[14:15], v[16:17], v[14:15]
	v_fma_f64 v[26:27], v[26:27], v[28:29], v[26:27]
	v_fma_f64 v[24:25], v[24:25], v[28:29], v[24:25]
	v_mul_f64 v[16:17], v[9:10], v[14:15]
	v_fma_f64 v[28:29], -v[26:27], v[26:27], v[22:23]
	v_fma_f64 v[9:10], -v[11:12], v[16:17], v[9:10]
	v_div_fmas_f64 v[9:10], v[9:10], v[14:15], v[16:17]
	v_cmp_nlt_f64_e64 vcc_lo, 0x40900000, |v[1:2]|
	v_div_fixup_f64 v[9:10], v[9:10], |v[1:2]|, 0x40400000
	v_add_f64 v[9:10], v[9:10], -2.0
	v_fma_f64 v[11:12], v[9:10], s[16:17], s[14:15]
	s_mov_b32 s17, 0x3c60adb7
	s_mov_b32 s14, 0x12d98421
	;; [unrolled: 1-line block ×3, first 2 shown]
	v_fma_f64 v[14:15], v[9:10], v[11:12], s[16:17]
	s_mov_b32 s16, 0x6a5dcb37
	s_mov_b32 s17, 0x3e5ade15
	v_add_f64 v[14:15], v[14:15], s[14:15]
	s_mov_b32 s14, 0x76041cd
	s_mov_b32 s15, 0x3c83f3dd
	v_fma_f64 v[11:12], v[9:10], v[14:15], -v[11:12]
	v_add_f64 v[11:12], v[11:12], s[14:15]
	s_mov_b32 s14, 0xabd21fe4
	s_mov_b32 s15, 0xbcb4600b
	v_fma_f64 v[14:15], v[9:10], v[11:12], -v[14:15]
	;; [unrolled: 4-line block ×15, first 2 shown]
	v_add_f64 v[11:12], v[11:12], s[14:15]
	s_mov_b32 s14, 0x652b82fe
	s_mov_b32 s15, 0x3ff71547
	v_mul_f64 v[16:17], |v[1:2]|, s[14:15]
	s_mov_b32 s14, 0xa9225b87
	s_mov_b32 s15, 0x3e2d2c64
	v_fma_f64 v[14:15], v[9:10], v[11:12], -v[14:15]
	v_rndne_f64_e32 v[16:17], v[16:17]
	v_add_f64 v[14:15], v[14:15], s[14:15]
	s_mov_b32 s14, 0xfefa39ef
	s_mov_b32 s15, 0xbfe62e42
	v_fma_f64 v[18:19], v[16:17], s[14:15], |v[1:2]|
	s_mov_b32 s14, 0x3b39803f
	s_mov_b32 s15, 0xbc7abc9e
	v_fma_f64 v[11:12], v[9:10], v[14:15], -v[11:12]
	v_fma_f64 v[18:19], v[16:17], s[14:15], v[18:19]
	s_mov_b32 s14, 0x80d6d56d
	s_mov_b32 s15, 0x3e585692
	v_add_f64 v[11:12], v[11:12], s[14:15]
	s_mov_b32 s14, 0xfca7ab0c
	s_mov_b32 s15, 0x3e928af3
	v_fma_f64 v[20:21], v[18:19], s[16:17], s[14:15]
	s_mov_b32 s14, 0x623fde64
	s_mov_b32 s15, 0x3ec71dee
	v_fma_f64 v[14:15], v[9:10], v[11:12], -v[14:15]
	v_fma_f64 v[20:21], v[18:19], v[20:21], s[14:15]
	s_mov_b32 s14, 0xd9cd616e
	s_mov_b32 s15, 0x3e8b8007
	v_add_f64 v[14:15], v[14:15], s[14:15]
	s_mov_b32 s14, 0x7c89e6b0
	s_mov_b32 s15, 0x3efa0199
	v_fma_f64 v[20:21], v[18:19], v[20:21], s[14:15]
	;; [unrolled: 10-line block ×5, first 2 shown]
	s_mov_b32 s14, 0xaca809cb
	s_mov_b32 s15, 0x3fe9be62
	v_fma_f64 v[9:10], v[9:10], v[11:12], -v[14:15]
	v_fma_f64 v[11:12], v[28:29], v[24:25], v[26:27]
	v_cvt_i32_f64_e32 v28, v[16:17]
	v_fma_f64 v[20:21], v[18:19], v[20:21], 1.0
	v_add_f64 v[9:10], v[9:10], s[14:15]
	v_fma_f64 v[26:27], -v[11:12], v[11:12], v[22:23]
	v_fma_f64 v[16:17], v[18:19], v[20:21], 1.0
	v_add_f64 v[9:10], v[9:10], -v[14:15]
	v_fma_f64 v[11:12], v[26:27], v[24:25], v[11:12]
	v_ldexp_f64 v[14:15], v[16:17], v28
	v_mul_f64 v[1:2], v[9:10], 0.5
	v_cndmask_b32_e64 v9, 0, 0xffffff80, s4
	v_cmp_class_f64_e64 s4, v[22:23], 0x260
	v_ldexp_f64 v[9:10], v[11:12], v9
	v_cndmask_b32_e32 v12, 0x7ff00000, v15, vcc_lo
	v_cndmask_b32_e32 v11, 0, v14, vcc_lo
	v_mul_f64 v[1:2], v[11:12], v[1:2]
	v_cndmask_b32_e64 v10, v10, v23, s4
	v_cndmask_b32_e64 v9, v9, v22, s4
	v_div_scale_f64 v[11:12], null, v[9:10], v[9:10], v[1:2]
	v_rcp_f64_e32 v[14:15], v[11:12]
	v_fma_f64 v[16:17], -v[11:12], v[14:15], 1.0
	v_fma_f64 v[14:15], v[14:15], v[16:17], v[14:15]
	v_fma_f64 v[16:17], -v[11:12], v[14:15], 1.0
	v_fma_f64 v[14:15], v[14:15], v[16:17], v[14:15]
	v_div_scale_f64 v[16:17], vcc_lo, v[1:2], v[9:10], v[1:2]
	v_mul_f64 v[18:19], v[16:17], v[14:15]
	v_fma_f64 v[11:12], -v[11:12], v[18:19], v[16:17]
	v_div_fmas_f64 v[11:12], v[11:12], v[14:15], v[18:19]
	v_div_fixup_f64 v[9:10], v[11:12], v[9:10], v[1:2]
.LBB5_15:
	s_or_b32 exec_lo, exec_lo, s5
	v_cmp_ge_f64_e64 s4, 0x40200000, |v[3:4]|
	s_and_saveexec_b32 s5, s4
	s_xor_b32 s4, exec_lo, s5
	s_cbranch_execz .LBB5_17
; %bb.16:
	v_fma_f64 v[1:2], |v[3:4]|, 0.5, -2.0
	s_mov_b32 s14, 0x977da589
	s_mov_b32 s15, 0x3c833362
	;; [unrolled: 1-line block ×4, first 2 shown]
	v_fma_f64 v[11:12], v[1:2], s[16:17], s[14:15]
	s_mov_b32 s17, 0x3c545cb7
	s_mov_b32 s14, 0x721ebbb4
	;; [unrolled: 1-line block ×3, first 2 shown]
	v_fma_f64 v[14:15], v[1:2], v[11:12], s[16:17]
	s_mov_b32 s16, 0x3b39803f
	s_mov_b32 s17, 0xbc7abc9e
	v_add_f64 v[14:15], v[14:15], s[14:15]
	s_mov_b32 s14, 0x93f65eba
	s_mov_b32 s15, 0x3cdee6d8
	v_fma_f64 v[11:12], v[1:2], v[14:15], -v[11:12]
	v_add_f64 v[11:12], v[11:12], s[14:15]
	s_mov_b32 s14, 0xc297fbeb
	s_mov_b32 s15, 0xbd0a5022
	v_fma_f64 v[14:15], v[1:2], v[11:12], -v[14:15]
	v_add_f64 v[14:15], v[14:15], s[14:15]
	s_mov_b32 s14, 0x4b262627
	s_mov_b32 s15, 0x3d359b46
	v_fma_f64 v[11:12], v[1:2], v[14:15], -v[11:12]
	v_add_f64 v[11:12], v[11:12], s[14:15]
	s_mov_b32 s14, 0x62ee1af0
	s_mov_b32 s15, 0xbd61164c
	v_fma_f64 v[14:15], v[1:2], v[11:12], -v[14:15]
	v_add_f64 v[14:15], v[14:15], s[14:15]
	s_mov_b32 s14, 0xe19bd324
	s_mov_b32 s15, 0x3d89fe2f
	v_fma_f64 v[11:12], v[1:2], v[14:15], -v[11:12]
	v_add_f64 v[11:12], v[11:12], s[14:15]
	s_mov_b32 s14, 0x7a946abc
	s_mov_b32 s15, 0xbdb2fc95
	v_fma_f64 v[14:15], v[1:2], v[11:12], -v[14:15]
	v_add_f64 v[14:15], v[14:15], s[14:15]
	s_mov_b32 s14, 0xcc743c10
	s_mov_b32 s15, 0x3dda98be
	v_fma_f64 v[11:12], v[1:2], v[14:15], -v[11:12]
	v_add_f64 v[11:12], v[11:12], s[14:15]
	s_mov_b32 s14, 0x13ae9556
	s_mov_b32 s15, 0xbe01d4fe
	v_fma_f64 v[14:15], v[1:2], v[11:12], -v[14:15]
	v_add_f64 v[14:15], v[14:15], s[14:15]
	s_mov_b32 s14, 0xa454cb34
	s_mov_b32 s15, 0x3e26d903
	v_fma_f64 v[11:12], v[1:2], v[14:15], -v[11:12]
	v_add_f64 v[11:12], v[11:12], s[14:15]
	s_mov_b32 s14, 0x8c0b30ab
	s_mov_b32 s15, 0xbe4beaf6
	v_fma_f64 v[14:15], v[1:2], v[11:12], -v[14:15]
	v_add_f64 v[14:15], v[14:15], s[14:15]
	s_mov_b32 s14, 0x9d4d6435
	s_mov_b32 s15, 0x3e703b76
	v_fma_f64 v[11:12], v[1:2], v[14:15], -v[11:12]
	v_add_f64 v[11:12], v[11:12], s[14:15]
	s_mov_b32 s14, 0x8f227f8d
	s_mov_b32 s15, 0xbe91ec63
	v_fma_f64 v[14:15], v[1:2], v[11:12], -v[14:15]
	v_add_f64 v[14:15], v[14:15], s[14:15]
	s_mov_b32 s14, 0x978cf4ac
	s_mov_b32 s15, 0x3eb2bf24
	v_fma_f64 v[11:12], v[1:2], v[14:15], -v[11:12]
	v_add_f64 v[11:12], v[11:12], s[14:15]
	s_mov_b32 s14, 0xcba56427
	s_mov_b32 s15, 0xbed2866f
	v_fma_f64 v[14:15], v[1:2], v[11:12], -v[14:15]
	v_add_f64 v[14:15], v[14:15], s[14:15]
	s_mov_b32 s14, 0xbe9a2859
	s_mov_b32 s15, 0x3ef13f58
	v_fma_f64 v[11:12], v[1:2], v[14:15], -v[11:12]
	v_add_f64 v[11:12], v[11:12], s[14:15]
	s_mov_b32 s14, 0x59c41d5a
	s_mov_b32 s15, 0xbf0e2b26
	v_fma_f64 v[14:15], v[1:2], v[11:12], -v[14:15]
	v_add_f64 v[14:15], v[14:15], s[14:15]
	s_mov_b32 s14, 0x74107cab
	s_mov_b32 s15, 0x3f28b51b
	v_fma_f64 v[11:12], v[1:2], v[14:15], -v[11:12]
	v_add_f64 v[11:12], v[11:12], s[14:15]
	s_mov_b32 s14, 0x1f15eb52
	s_mov_b32 s15, 0xbf42e2fd
	v_fma_f64 v[14:15], v[1:2], v[11:12], -v[14:15]
	v_add_f64 v[14:15], v[14:15], s[14:15]
	s_mov_b32 s14, 0x8a12100e
	s_mov_b32 s15, 0x3f5adc75
	v_fma_f64 v[11:12], v[1:2], v[14:15], -v[11:12]
	v_add_f64 v[11:12], v[11:12], s[14:15]
	s_mov_b32 s14, 0x201aa849
	s_mov_b32 s15, 0xbf71b65e
	v_fma_f64 v[14:15], v[1:2], v[11:12], -v[14:15]
	v_add_f64 v[14:15], v[14:15], s[14:15]
	s_mov_b32 s14, 0x652b82fe
	s_mov_b32 s15, 0x3ff71547
	v_mul_f64 v[16:17], |v[3:4]|, s[14:15]
	s_mov_b32 s14, 0xf3dde3dd
	s_mov_b32 s15, 0x3f859961
	v_fma_f64 v[11:12], v[1:2], v[14:15], -v[11:12]
	v_rndne_f64_e32 v[16:17], v[16:17]
	v_add_f64 v[11:12], v[11:12], s[14:15]
	s_mov_b32 s14, 0xfefa39ef
	s_mov_b32 s15, 0xbfe62e42
	v_fma_f64 v[3:4], v[16:17], s[14:15], |v[3:4]|
	s_mov_b32 s14, 0xf121b6f0
	s_mov_b32 s15, 0xbf984e9e
	v_fma_f64 v[14:15], v[1:2], v[11:12], -v[14:15]
	v_fma_f64 v[3:4], v[16:17], s[16:17], v[3:4]
	s_mov_b32 s16, 0x6a5dcb37
	s_mov_b32 s17, 0x3e5ade15
	v_add_f64 v[14:15], v[14:15], s[14:15]
	s_mov_b32 s14, 0xfca7ab0c
	s_mov_b32 s15, 0x3e928af3
	v_fma_f64 v[18:19], v[3:4], s[16:17], s[14:15]
	s_mov_b32 s14, 0xcea8a32d
	s_mov_b32 s16, 0x623fde64
	;; [unrolled: 1-line block ×4, first 2 shown]
	v_fma_f64 v[11:12], v[1:2], v[14:15], -v[11:12]
	v_fma_f64 v[18:19], v[3:4], v[18:19], s[16:17]
	s_mov_b32 s16, 0x14761f6e
	s_mov_b32 s17, 0x3f2a01a0
	v_add_f64 v[11:12], v[11:12], s[14:15]
	s_mov_b32 s14, 0x7c89e6b0
	s_mov_b32 s15, 0x3efa0199
	v_fma_f64 v[18:19], v[3:4], v[18:19], s[14:15]
	s_mov_b32 s14, 0x342d06ea
	s_mov_b32 s15, 0xbfb84b70
	v_fma_f64 v[14:15], v[1:2], v[11:12], -v[14:15]
	v_fma_f64 v[18:19], v[3:4], v[18:19], s[16:17]
	s_mov_b32 s16, 0x11122322
	s_mov_b32 s17, 0x3f811111
	v_add_f64 v[14:15], v[14:15], s[14:15]
	s_mov_b32 s14, 0x1852b7b0
	s_mov_b32 s15, 0x3f56c16c
	v_fma_f64 v[18:19], v[3:4], v[18:19], s[14:15]
	s_mov_b32 s14, 0x77ac88c0
	s_mov_b32 s15, 0x3fc5f7ac
	;; [unrolled: 10-line block ×3, first 2 shown]
	v_fma_f64 v[14:15], v[1:2], v[11:12], -v[14:15]
	v_fma_f64 v[18:19], v[3:4], v[18:19], s[16:17]
	v_add_f64 v[14:15], v[14:15], s[14:15]
	s_mov_b32 s14, 11
	s_mov_b32 s15, 0x3fe00000
	v_fma_f64 v[18:19], v[3:4], v[18:19], s[14:15]
	s_mov_b32 s14, 0x9035a22a
	s_mov_b32 s15, 0x3fe5a84e
	v_fma_f64 v[1:2], v[1:2], v[14:15], -v[11:12]
	v_fma_f64 v[14:15], v[3:4], v[18:19], 1.0
	v_add_f64 v[1:2], v[1:2], s[14:15]
	v_fma_f64 v[3:4], v[3:4], v[14:15], 1.0
	v_cvt_i32_f64_e32 v14, v[16:17]
	v_add_f64 v[1:2], v[1:2], -v[11:12]
	v_ldexp_f64 v[3:4], v[3:4], v14
	v_mul_f64 v[1:2], v[1:2], 0.5
	v_mul_f64 v[11:12], v[3:4], v[1:2]
                                        ; implicit-def: $vgpr3_vgpr4
.LBB5_17:
	s_andn2_saveexec_b32 s5, s4
	s_cbranch_execz .LBB5_19
; %bb.18:
	v_and_b32_e32 v2, 0x7fffffff, v4
	v_mov_b32_e32 v1, v3
	s_mov_b32 s14, 0x66119130
	s_mov_b32 s15, 0xbc5646da
	;; [unrolled: 1-line block ×4, first 2 shown]
	v_div_scale_f64 v[11:12], null, v[1:2], v[1:2], 0x40400000
	v_div_scale_f64 v[1:2], vcc_lo, 0x40400000, v[1:2], 0x40400000
	v_cmp_gt_f64_e64 s4, 0x10000000, |v[3:4]|
	v_rcp_f64_e32 v[14:15], v[11:12]
	v_cndmask_b32_e64 v22, 0, 0x100, s4
	v_ldexp_f64 v[22:23], |v[3:4]|, v22
	v_fma_f64 v[16:17], -v[11:12], v[14:15], 1.0
	v_rsq_f64_e32 v[24:25], v[22:23]
	v_fma_f64 v[14:15], v[14:15], v[16:17], v[14:15]
	v_mul_f64 v[26:27], v[22:23], v[24:25]
	v_mul_f64 v[24:25], v[24:25], 0.5
	v_fma_f64 v[16:17], -v[11:12], v[14:15], 1.0
	v_fma_f64 v[28:29], -v[24:25], v[26:27], 0.5
	v_fma_f64 v[14:15], v[14:15], v[16:17], v[14:15]
	v_fma_f64 v[26:27], v[26:27], v[28:29], v[26:27]
	;; [unrolled: 1-line block ×3, first 2 shown]
	v_mul_f64 v[16:17], v[1:2], v[14:15]
	v_fma_f64 v[28:29], -v[26:27], v[26:27], v[22:23]
	v_fma_f64 v[1:2], -v[11:12], v[16:17], v[1:2]
	v_div_fmas_f64 v[1:2], v[1:2], v[14:15], v[16:17]
	v_cmp_nlt_f64_e64 vcc_lo, 0x40900000, |v[3:4]|
	v_div_fixup_f64 v[1:2], v[1:2], |v[3:4]|, 0x40400000
	v_add_f64 v[1:2], v[1:2], -2.0
	v_fma_f64 v[11:12], v[1:2], s[16:17], s[14:15]
	s_mov_b32 s17, 0x3c60adb7
	s_mov_b32 s14, 0x12d98421
	;; [unrolled: 1-line block ×3, first 2 shown]
	v_fma_f64 v[14:15], v[1:2], v[11:12], s[16:17]
	s_mov_b32 s16, 0x6a5dcb37
	s_mov_b32 s17, 0x3e5ade15
	v_add_f64 v[14:15], v[14:15], s[14:15]
	s_mov_b32 s14, 0x76041cd
	s_mov_b32 s15, 0x3c83f3dd
	v_fma_f64 v[11:12], v[1:2], v[14:15], -v[11:12]
	v_add_f64 v[11:12], v[11:12], s[14:15]
	s_mov_b32 s14, 0xabd21fe4
	s_mov_b32 s15, 0xbcb4600b
	v_fma_f64 v[14:15], v[1:2], v[11:12], -v[14:15]
	;; [unrolled: 4-line block ×15, first 2 shown]
	v_add_f64 v[11:12], v[11:12], s[14:15]
	s_mov_b32 s14, 0x652b82fe
	s_mov_b32 s15, 0x3ff71547
	v_mul_f64 v[16:17], |v[3:4]|, s[14:15]
	s_mov_b32 s14, 0xa9225b87
	s_mov_b32 s15, 0x3e2d2c64
	v_fma_f64 v[14:15], v[1:2], v[11:12], -v[14:15]
	v_rndne_f64_e32 v[16:17], v[16:17]
	v_add_f64 v[14:15], v[14:15], s[14:15]
	s_mov_b32 s14, 0xfefa39ef
	s_mov_b32 s15, 0xbfe62e42
	v_fma_f64 v[18:19], v[16:17], s[14:15], |v[3:4]|
	s_mov_b32 s14, 0x3b39803f
	s_mov_b32 s15, 0xbc7abc9e
	v_cndmask_b32_e64 v3, 0, 0xffffff80, s4
	v_cmp_class_f64_e64 s4, v[22:23], 0x260
	v_fma_f64 v[11:12], v[1:2], v[14:15], -v[11:12]
	v_fma_f64 v[18:19], v[16:17], s[14:15], v[18:19]
	s_mov_b32 s14, 0x80d6d56d
	s_mov_b32 s15, 0x3e585692
	v_add_f64 v[11:12], v[11:12], s[14:15]
	s_mov_b32 s14, 0xfca7ab0c
	s_mov_b32 s15, 0x3e928af3
	v_fma_f64 v[20:21], v[18:19], s[16:17], s[14:15]
	s_mov_b32 s14, 0x623fde64
	s_mov_b32 s15, 0x3ec71dee
	v_fma_f64 v[14:15], v[1:2], v[11:12], -v[14:15]
	v_fma_f64 v[20:21], v[18:19], v[20:21], s[14:15]
	s_mov_b32 s14, 0xd9cd616e
	s_mov_b32 s15, 0x3e8b8007
	v_add_f64 v[14:15], v[14:15], s[14:15]
	s_mov_b32 s14, 0x7c89e6b0
	s_mov_b32 s15, 0x3efa0199
	v_fma_f64 v[20:21], v[18:19], v[20:21], s[14:15]
	s_mov_b32 s14, 0x14761f6e
	s_mov_b32 s15, 0x3f2a01a0
	;; [unrolled: 10-line block ×5, first 2 shown]
	v_fma_f64 v[1:2], v[1:2], v[11:12], -v[14:15]
	v_fma_f64 v[11:12], v[28:29], v[24:25], v[26:27]
	v_cvt_i32_f64_e32 v28, v[16:17]
	v_fma_f64 v[20:21], v[18:19], v[20:21], 1.0
	v_add_f64 v[1:2], v[1:2], s[14:15]
	v_fma_f64 v[26:27], -v[11:12], v[11:12], v[22:23]
	v_fma_f64 v[16:17], v[18:19], v[20:21], 1.0
	v_add_f64 v[1:2], v[1:2], -v[14:15]
	v_fma_f64 v[11:12], v[26:27], v[24:25], v[11:12]
	v_ldexp_f64 v[14:15], v[16:17], v28
	v_mul_f64 v[1:2], v[1:2], 0.5
	v_ldexp_f64 v[3:4], v[11:12], v3
	v_cndmask_b32_e32 v12, 0x7ff00000, v15, vcc_lo
	v_cndmask_b32_e32 v11, 0, v14, vcc_lo
	v_mul_f64 v[1:2], v[11:12], v[1:2]
	v_cndmask_b32_e64 v4, v4, v23, s4
	v_cndmask_b32_e64 v3, v3, v22, s4
	v_div_scale_f64 v[11:12], null, v[3:4], v[3:4], v[1:2]
	v_rcp_f64_e32 v[14:15], v[11:12]
	v_fma_f64 v[16:17], -v[11:12], v[14:15], 1.0
	v_fma_f64 v[14:15], v[14:15], v[16:17], v[14:15]
	v_fma_f64 v[16:17], -v[11:12], v[14:15], 1.0
	v_fma_f64 v[14:15], v[14:15], v[16:17], v[14:15]
	v_div_scale_f64 v[16:17], vcc_lo, v[1:2], v[3:4], v[1:2]
	v_mul_f64 v[18:19], v[16:17], v[14:15]
	v_fma_f64 v[11:12], -v[11:12], v[18:19], v[16:17]
	v_div_fmas_f64 v[11:12], v[11:12], v[14:15], v[18:19]
	v_div_fixup_f64 v[11:12], v[11:12], v[3:4], v[1:2]
.LBB5_19:
	s_or_b32 exec_lo, exec_lo, s5
	s_add_u32 s4, s8, s12
	s_addc_u32 s5, s9, s13
	v_add_co_u32 v1, s12, s4, v13
	v_add_co_ci_u32_e64 v2, null, s5, 0, s12
	global_store_dwordx4 v13, v[5:8], s[4:5]
	v_add_co_u32 v1, vcc_lo, 0x1000, v1
	v_add_co_ci_u32_e64 v2, null, 0, v2, vcc_lo
	global_store_dwordx4 v[1:2], v[9:12], off
	s_branch .LBB5_2
.LBB5_20:
	v_mov_b32_e32 v31, v0
	v_mov_b32_e32 v0, s8
	;; [unrolled: 1-line block ×6, first 2 shown]
	s_getpc_b64 s[4:5]
	s_add_u32 s4, s4, _ZN2at6native25elementwise_kernel_helperILb0EZZZNS0_12_GLOBAL__N_130modified_bessel_i0_kernel_cudaERNS_18TensorIteratorBaseEENKUlvE_clEvENKUlvE_clEvEUldE_NS0_6memory8policies11unroll_baseILi256ESt5arrayIPcLm2EE23TrivialOffsetCalculatorILi1EjESF_NS8_15LoadWithoutCastENS8_16StoreWithoutCastELi4ELi1EEEEEvT0_T1_@rel32@lo+4
	s_addc_u32 s5, s5, _ZN2at6native25elementwise_kernel_helperILb0EZZZNS0_12_GLOBAL__N_130modified_bessel_i0_kernel_cudaERNS_18TensorIteratorBaseEENKUlvE_clEvENKUlvE_clEvEUldE_NS0_6memory8policies11unroll_baseILi256ESt5arrayIPcLm2EE23TrivialOffsetCalculatorILi1EjESF_NS8_15LoadWithoutCastENS8_16StoreWithoutCastELi4ELi1EEEEEvT0_T1_@rel32@hi+12
	s_mov_b32 s12, s6
	s_swappc_b64 s[30:31], s[4:5]
	s_endpgm
	.section	.rodata,"a",@progbits
	.p2align	6, 0x0
	.amdhsa_kernel _ZN2at6native29vectorized_elementwise_kernelILi2EZZZNS0_12_GLOBAL__N_130modified_bessel_i0_kernel_cudaERNS_18TensorIteratorBaseEENKUlvE_clEvENKUlvE_clEvEUldE_St5arrayIPcLm2EEEEviT0_T1_
		.amdhsa_group_segment_fixed_size 0
		.amdhsa_private_segment_fixed_size 0
		.amdhsa_kernarg_size 24
		.amdhsa_user_sgpr_count 6
		.amdhsa_user_sgpr_private_segment_buffer 1
		.amdhsa_user_sgpr_dispatch_ptr 0
		.amdhsa_user_sgpr_queue_ptr 0
		.amdhsa_user_sgpr_kernarg_segment_ptr 1
		.amdhsa_user_sgpr_dispatch_id 0
		.amdhsa_user_sgpr_flat_scratch_init 0
		.amdhsa_user_sgpr_private_segment_size 0
		.amdhsa_wavefront_size32 1
		.amdhsa_uses_dynamic_stack 0
		.amdhsa_system_sgpr_private_segment_wavefront_offset 0
		.amdhsa_system_sgpr_workgroup_id_x 1
		.amdhsa_system_sgpr_workgroup_id_y 0
		.amdhsa_system_sgpr_workgroup_id_z 0
		.amdhsa_system_sgpr_workgroup_info 0
		.amdhsa_system_vgpr_workitem_id 0
		.amdhsa_next_free_vgpr 38
		.amdhsa_next_free_sgpr 33
		.amdhsa_reserve_vcc 1
		.amdhsa_reserve_flat_scratch 0
		.amdhsa_float_round_mode_32 0
		.amdhsa_float_round_mode_16_64 0
		.amdhsa_float_denorm_mode_32 3
		.amdhsa_float_denorm_mode_16_64 3
		.amdhsa_dx10_clamp 1
		.amdhsa_ieee_mode 1
		.amdhsa_fp16_overflow 0
		.amdhsa_workgroup_processor_mode 1
		.amdhsa_memory_ordered 1
		.amdhsa_forward_progress 1
		.amdhsa_shared_vgpr_count 0
		.amdhsa_exception_fp_ieee_invalid_op 0
		.amdhsa_exception_fp_denorm_src 0
		.amdhsa_exception_fp_ieee_div_zero 0
		.amdhsa_exception_fp_ieee_overflow 0
		.amdhsa_exception_fp_ieee_underflow 0
		.amdhsa_exception_fp_ieee_inexact 0
		.amdhsa_exception_int_div_zero 0
	.end_amdhsa_kernel
	.section	.text._ZN2at6native29vectorized_elementwise_kernelILi2EZZZNS0_12_GLOBAL__N_130modified_bessel_i0_kernel_cudaERNS_18TensorIteratorBaseEENKUlvE_clEvENKUlvE_clEvEUldE_St5arrayIPcLm2EEEEviT0_T1_,"axG",@progbits,_ZN2at6native29vectorized_elementwise_kernelILi2EZZZNS0_12_GLOBAL__N_130modified_bessel_i0_kernel_cudaERNS_18TensorIteratorBaseEENKUlvE_clEvENKUlvE_clEvEUldE_St5arrayIPcLm2EEEEviT0_T1_,comdat
.Lfunc_end5:
	.size	_ZN2at6native29vectorized_elementwise_kernelILi2EZZZNS0_12_GLOBAL__N_130modified_bessel_i0_kernel_cudaERNS_18TensorIteratorBaseEENKUlvE_clEvENKUlvE_clEvEUldE_St5arrayIPcLm2EEEEviT0_T1_, .Lfunc_end5-_ZN2at6native29vectorized_elementwise_kernelILi2EZZZNS0_12_GLOBAL__N_130modified_bessel_i0_kernel_cudaERNS_18TensorIteratorBaseEENKUlvE_clEvENKUlvE_clEvEUldE_St5arrayIPcLm2EEEEviT0_T1_
                                        ; -- End function
	.set _ZN2at6native29vectorized_elementwise_kernelILi2EZZZNS0_12_GLOBAL__N_130modified_bessel_i0_kernel_cudaERNS_18TensorIteratorBaseEENKUlvE_clEvENKUlvE_clEvEUldE_St5arrayIPcLm2EEEEviT0_T1_.num_vgpr, max(32, .L_ZN2at6native25elementwise_kernel_helperILb0EZZZNS0_12_GLOBAL__N_130modified_bessel_i0_kernel_cudaERNS_18TensorIteratorBaseEENKUlvE_clEvENKUlvE_clEvEUldE_NS0_6memory8policies11unroll_baseILi256ESt5arrayIPcLm2EE23TrivialOffsetCalculatorILi1EjESF_NS8_15LoadWithoutCastENS8_16StoreWithoutCastELi4ELi1EEEEEvT0_T1_.num_vgpr)
	.set _ZN2at6native29vectorized_elementwise_kernelILi2EZZZNS0_12_GLOBAL__N_130modified_bessel_i0_kernel_cudaERNS_18TensorIteratorBaseEENKUlvE_clEvENKUlvE_clEvEUldE_St5arrayIPcLm2EEEEviT0_T1_.num_agpr, max(0, .L_ZN2at6native25elementwise_kernel_helperILb0EZZZNS0_12_GLOBAL__N_130modified_bessel_i0_kernel_cudaERNS_18TensorIteratorBaseEENKUlvE_clEvENKUlvE_clEvEUldE_NS0_6memory8policies11unroll_baseILi256ESt5arrayIPcLm2EE23TrivialOffsetCalculatorILi1EjESF_NS8_15LoadWithoutCastENS8_16StoreWithoutCastELi4ELi1EEEEEvT0_T1_.num_agpr)
	.set _ZN2at6native29vectorized_elementwise_kernelILi2EZZZNS0_12_GLOBAL__N_130modified_bessel_i0_kernel_cudaERNS_18TensorIteratorBaseEENKUlvE_clEvENKUlvE_clEvEUldE_St5arrayIPcLm2EEEEviT0_T1_.numbered_sgpr, max(33, .L_ZN2at6native25elementwise_kernel_helperILb0EZZZNS0_12_GLOBAL__N_130modified_bessel_i0_kernel_cudaERNS_18TensorIteratorBaseEENKUlvE_clEvENKUlvE_clEvEUldE_NS0_6memory8policies11unroll_baseILi256ESt5arrayIPcLm2EE23TrivialOffsetCalculatorILi1EjESF_NS8_15LoadWithoutCastENS8_16StoreWithoutCastELi4ELi1EEEEEvT0_T1_.numbered_sgpr)
	.set _ZN2at6native29vectorized_elementwise_kernelILi2EZZZNS0_12_GLOBAL__N_130modified_bessel_i0_kernel_cudaERNS_18TensorIteratorBaseEENKUlvE_clEvENKUlvE_clEvEUldE_St5arrayIPcLm2EEEEviT0_T1_.num_named_barrier, max(0, .L_ZN2at6native25elementwise_kernel_helperILb0EZZZNS0_12_GLOBAL__N_130modified_bessel_i0_kernel_cudaERNS_18TensorIteratorBaseEENKUlvE_clEvENKUlvE_clEvEUldE_NS0_6memory8policies11unroll_baseILi256ESt5arrayIPcLm2EE23TrivialOffsetCalculatorILi1EjESF_NS8_15LoadWithoutCastENS8_16StoreWithoutCastELi4ELi1EEEEEvT0_T1_.num_named_barrier)
	.set _ZN2at6native29vectorized_elementwise_kernelILi2EZZZNS0_12_GLOBAL__N_130modified_bessel_i0_kernel_cudaERNS_18TensorIteratorBaseEENKUlvE_clEvENKUlvE_clEvEUldE_St5arrayIPcLm2EEEEviT0_T1_.private_seg_size, 0+max(.L_ZN2at6native25elementwise_kernel_helperILb0EZZZNS0_12_GLOBAL__N_130modified_bessel_i0_kernel_cudaERNS_18TensorIteratorBaseEENKUlvE_clEvENKUlvE_clEvEUldE_NS0_6memory8policies11unroll_baseILi256ESt5arrayIPcLm2EE23TrivialOffsetCalculatorILi1EjESF_NS8_15LoadWithoutCastENS8_16StoreWithoutCastELi4ELi1EEEEEvT0_T1_.private_seg_size)
	.set _ZN2at6native29vectorized_elementwise_kernelILi2EZZZNS0_12_GLOBAL__N_130modified_bessel_i0_kernel_cudaERNS_18TensorIteratorBaseEENKUlvE_clEvENKUlvE_clEvEUldE_St5arrayIPcLm2EEEEviT0_T1_.uses_vcc, or(1, .L_ZN2at6native25elementwise_kernel_helperILb0EZZZNS0_12_GLOBAL__N_130modified_bessel_i0_kernel_cudaERNS_18TensorIteratorBaseEENKUlvE_clEvENKUlvE_clEvEUldE_NS0_6memory8policies11unroll_baseILi256ESt5arrayIPcLm2EE23TrivialOffsetCalculatorILi1EjESF_NS8_15LoadWithoutCastENS8_16StoreWithoutCastELi4ELi1EEEEEvT0_T1_.uses_vcc)
	.set _ZN2at6native29vectorized_elementwise_kernelILi2EZZZNS0_12_GLOBAL__N_130modified_bessel_i0_kernel_cudaERNS_18TensorIteratorBaseEENKUlvE_clEvENKUlvE_clEvEUldE_St5arrayIPcLm2EEEEviT0_T1_.uses_flat_scratch, or(0, .L_ZN2at6native25elementwise_kernel_helperILb0EZZZNS0_12_GLOBAL__N_130modified_bessel_i0_kernel_cudaERNS_18TensorIteratorBaseEENKUlvE_clEvENKUlvE_clEvEUldE_NS0_6memory8policies11unroll_baseILi256ESt5arrayIPcLm2EE23TrivialOffsetCalculatorILi1EjESF_NS8_15LoadWithoutCastENS8_16StoreWithoutCastELi4ELi1EEEEEvT0_T1_.uses_flat_scratch)
	.set _ZN2at6native29vectorized_elementwise_kernelILi2EZZZNS0_12_GLOBAL__N_130modified_bessel_i0_kernel_cudaERNS_18TensorIteratorBaseEENKUlvE_clEvENKUlvE_clEvEUldE_St5arrayIPcLm2EEEEviT0_T1_.has_dyn_sized_stack, or(0, .L_ZN2at6native25elementwise_kernel_helperILb0EZZZNS0_12_GLOBAL__N_130modified_bessel_i0_kernel_cudaERNS_18TensorIteratorBaseEENKUlvE_clEvENKUlvE_clEvEUldE_NS0_6memory8policies11unroll_baseILi256ESt5arrayIPcLm2EE23TrivialOffsetCalculatorILi1EjESF_NS8_15LoadWithoutCastENS8_16StoreWithoutCastELi4ELi1EEEEEvT0_T1_.has_dyn_sized_stack)
	.set _ZN2at6native29vectorized_elementwise_kernelILi2EZZZNS0_12_GLOBAL__N_130modified_bessel_i0_kernel_cudaERNS_18TensorIteratorBaseEENKUlvE_clEvENKUlvE_clEvEUldE_St5arrayIPcLm2EEEEviT0_T1_.has_recursion, or(0, .L_ZN2at6native25elementwise_kernel_helperILb0EZZZNS0_12_GLOBAL__N_130modified_bessel_i0_kernel_cudaERNS_18TensorIteratorBaseEENKUlvE_clEvENKUlvE_clEvEUldE_NS0_6memory8policies11unroll_baseILi256ESt5arrayIPcLm2EE23TrivialOffsetCalculatorILi1EjESF_NS8_15LoadWithoutCastENS8_16StoreWithoutCastELi4ELi1EEEEEvT0_T1_.has_recursion)
	.set _ZN2at6native29vectorized_elementwise_kernelILi2EZZZNS0_12_GLOBAL__N_130modified_bessel_i0_kernel_cudaERNS_18TensorIteratorBaseEENKUlvE_clEvENKUlvE_clEvEUldE_St5arrayIPcLm2EEEEviT0_T1_.has_indirect_call, or(0, .L_ZN2at6native25elementwise_kernel_helperILb0EZZZNS0_12_GLOBAL__N_130modified_bessel_i0_kernel_cudaERNS_18TensorIteratorBaseEENKUlvE_clEvENKUlvE_clEvEUldE_NS0_6memory8policies11unroll_baseILi256ESt5arrayIPcLm2EE23TrivialOffsetCalculatorILi1EjESF_NS8_15LoadWithoutCastENS8_16StoreWithoutCastELi4ELi1EEEEEvT0_T1_.has_indirect_call)
	.section	.AMDGPU.csdata,"",@progbits
; Kernel info:
; codeLenInByte = 11724
; TotalNumSgprs: 35
; NumVgprs: 38
; ScratchSize: 0
; MemoryBound: 0
; FloatMode: 240
; IeeeMode: 1
; LDSByteSize: 0 bytes/workgroup (compile time only)
; SGPRBlocks: 0
; VGPRBlocks: 4
; NumSGPRsForWavesPerEU: 35
; NumVGPRsForWavesPerEU: 38
; Occupancy: 16
; WaveLimiterHint : 1
; COMPUTE_PGM_RSRC2:SCRATCH_EN: 0
; COMPUTE_PGM_RSRC2:USER_SGPR: 6
; COMPUTE_PGM_RSRC2:TRAP_HANDLER: 0
; COMPUTE_PGM_RSRC2:TGID_X_EN: 1
; COMPUTE_PGM_RSRC2:TGID_Y_EN: 0
; COMPUTE_PGM_RSRC2:TGID_Z_EN: 0
; COMPUTE_PGM_RSRC2:TIDIG_COMP_CNT: 0
	.section	.text._ZN2at6native27unrolled_elementwise_kernelIZZZNS0_12_GLOBAL__N_130modified_bessel_i0_kernel_cudaERNS_18TensorIteratorBaseEENKUlvE_clEvENKUlvE_clEvEUldE_St5arrayIPcLm2EELi4E23TrivialOffsetCalculatorILi1EjESC_NS0_6memory15LoadWithoutCastENSD_16StoreWithoutCastEEEviT_T0_T2_T3_T4_T5_,"axG",@progbits,_ZN2at6native27unrolled_elementwise_kernelIZZZNS0_12_GLOBAL__N_130modified_bessel_i0_kernel_cudaERNS_18TensorIteratorBaseEENKUlvE_clEvENKUlvE_clEvEUldE_St5arrayIPcLm2EELi4E23TrivialOffsetCalculatorILi1EjESC_NS0_6memory15LoadWithoutCastENSD_16StoreWithoutCastEEEviT_T0_T2_T3_T4_T5_,comdat
	.globl	_ZN2at6native27unrolled_elementwise_kernelIZZZNS0_12_GLOBAL__N_130modified_bessel_i0_kernel_cudaERNS_18TensorIteratorBaseEENKUlvE_clEvENKUlvE_clEvEUldE_St5arrayIPcLm2EELi4E23TrivialOffsetCalculatorILi1EjESC_NS0_6memory15LoadWithoutCastENSD_16StoreWithoutCastEEEviT_T0_T2_T3_T4_T5_ ; -- Begin function _ZN2at6native27unrolled_elementwise_kernelIZZZNS0_12_GLOBAL__N_130modified_bessel_i0_kernel_cudaERNS_18TensorIteratorBaseEENKUlvE_clEvENKUlvE_clEvEUldE_St5arrayIPcLm2EELi4E23TrivialOffsetCalculatorILi1EjESC_NS0_6memory15LoadWithoutCastENSD_16StoreWithoutCastEEEviT_T0_T2_T3_T4_T5_
	.p2align	8
	.type	_ZN2at6native27unrolled_elementwise_kernelIZZZNS0_12_GLOBAL__N_130modified_bessel_i0_kernel_cudaERNS_18TensorIteratorBaseEENKUlvE_clEvENKUlvE_clEvEUldE_St5arrayIPcLm2EELi4E23TrivialOffsetCalculatorILi1EjESC_NS0_6memory15LoadWithoutCastENSD_16StoreWithoutCastEEEviT_T0_T2_T3_T4_T5_,@function
_ZN2at6native27unrolled_elementwise_kernelIZZZNS0_12_GLOBAL__N_130modified_bessel_i0_kernel_cudaERNS_18TensorIteratorBaseEENKUlvE_clEvENKUlvE_clEvEUldE_St5arrayIPcLm2EELi4E23TrivialOffsetCalculatorILi1EjESC_NS0_6memory15LoadWithoutCastENSD_16StoreWithoutCastEEEviT_T0_T2_T3_T4_T5_: ; @_ZN2at6native27unrolled_elementwise_kernelIZZZNS0_12_GLOBAL__N_130modified_bessel_i0_kernel_cudaERNS_18TensorIteratorBaseEENKUlvE_clEvENKUlvE_clEvEUldE_St5arrayIPcLm2EELi4E23TrivialOffsetCalculatorILi1EjESC_NS0_6memory15LoadWithoutCastENSD_16StoreWithoutCastEEEviT_T0_T2_T3_T4_T5_
; %bb.0:
	s_add_u32 s0, s0, s7
	s_clause 0x1
	s_load_dword s7, s[4:5], 0x0
	s_load_dwordx4 s[8:11], s[4:5], 0x8
	s_addc_u32 s1, s1, 0
	s_lshl_b32 s12, s6, 10
	s_getpc_b64 s[4:5]
	s_add_u32 s4, s4, _ZN2at6native25elementwise_kernel_helperILb0EZZZNS0_12_GLOBAL__N_130modified_bessel_i0_kernel_cudaERNS_18TensorIteratorBaseEENKUlvE_clEvENKUlvE_clEvEUldE_NS0_6memory8policies11unroll_baseILi256ESt5arrayIPcLm2EE23TrivialOffsetCalculatorILi1EjESF_NS8_15LoadWithoutCastENS8_16StoreWithoutCastELi4ELi1EEEEEvT0_T1_@rel32@lo+4
	s_addc_u32 s5, s5, _ZN2at6native25elementwise_kernel_helperILb0EZZZNS0_12_GLOBAL__N_130modified_bessel_i0_kernel_cudaERNS_18TensorIteratorBaseEENKUlvE_clEvENKUlvE_clEvEUldE_NS0_6memory8policies11unroll_baseILi256ESt5arrayIPcLm2EE23TrivialOffsetCalculatorILi1EjESF_NS8_15LoadWithoutCastENS8_16StoreWithoutCastELi4ELi1EEEEEvT0_T1_@rel32@hi+12
	v_mov_b32_e32 v31, v0
	s_mov_b32 s32, 0
	s_waitcnt lgkmcnt(0)
	s_sub_i32 s7, s7, s12
	v_mov_b32_e32 v0, s8
	v_mov_b32_e32 v1, s9
	;; [unrolled: 1-line block ×5, first 2 shown]
	s_mov_b32 s12, s6
	s_swappc_b64 s[30:31], s[4:5]
	s_endpgm
	.section	.rodata,"a",@progbits
	.p2align	6, 0x0
	.amdhsa_kernel _ZN2at6native27unrolled_elementwise_kernelIZZZNS0_12_GLOBAL__N_130modified_bessel_i0_kernel_cudaERNS_18TensorIteratorBaseEENKUlvE_clEvENKUlvE_clEvEUldE_St5arrayIPcLm2EELi4E23TrivialOffsetCalculatorILi1EjESC_NS0_6memory15LoadWithoutCastENSD_16StoreWithoutCastEEEviT_T0_T2_T3_T4_T5_
		.amdhsa_group_segment_fixed_size 0
		.amdhsa_private_segment_fixed_size 0
		.amdhsa_kernarg_size 28
		.amdhsa_user_sgpr_count 6
		.amdhsa_user_sgpr_private_segment_buffer 1
		.amdhsa_user_sgpr_dispatch_ptr 0
		.amdhsa_user_sgpr_queue_ptr 0
		.amdhsa_user_sgpr_kernarg_segment_ptr 1
		.amdhsa_user_sgpr_dispatch_id 0
		.amdhsa_user_sgpr_flat_scratch_init 0
		.amdhsa_user_sgpr_private_segment_size 0
		.amdhsa_wavefront_size32 1
		.amdhsa_uses_dynamic_stack 0
		.amdhsa_system_sgpr_private_segment_wavefront_offset 0
		.amdhsa_system_sgpr_workgroup_id_x 1
		.amdhsa_system_sgpr_workgroup_id_y 0
		.amdhsa_system_sgpr_workgroup_id_z 0
		.amdhsa_system_sgpr_workgroup_info 0
		.amdhsa_system_vgpr_workitem_id 0
		.amdhsa_next_free_vgpr 38
		.amdhsa_next_free_sgpr 33
		.amdhsa_reserve_vcc 1
		.amdhsa_reserve_flat_scratch 0
		.amdhsa_float_round_mode_32 0
		.amdhsa_float_round_mode_16_64 0
		.amdhsa_float_denorm_mode_32 3
		.amdhsa_float_denorm_mode_16_64 3
		.amdhsa_dx10_clamp 1
		.amdhsa_ieee_mode 1
		.amdhsa_fp16_overflow 0
		.amdhsa_workgroup_processor_mode 1
		.amdhsa_memory_ordered 1
		.amdhsa_forward_progress 1
		.amdhsa_shared_vgpr_count 0
		.amdhsa_exception_fp_ieee_invalid_op 0
		.amdhsa_exception_fp_denorm_src 0
		.amdhsa_exception_fp_ieee_div_zero 0
		.amdhsa_exception_fp_ieee_overflow 0
		.amdhsa_exception_fp_ieee_underflow 0
		.amdhsa_exception_fp_ieee_inexact 0
		.amdhsa_exception_int_div_zero 0
	.end_amdhsa_kernel
	.section	.text._ZN2at6native27unrolled_elementwise_kernelIZZZNS0_12_GLOBAL__N_130modified_bessel_i0_kernel_cudaERNS_18TensorIteratorBaseEENKUlvE_clEvENKUlvE_clEvEUldE_St5arrayIPcLm2EELi4E23TrivialOffsetCalculatorILi1EjESC_NS0_6memory15LoadWithoutCastENSD_16StoreWithoutCastEEEviT_T0_T2_T3_T4_T5_,"axG",@progbits,_ZN2at6native27unrolled_elementwise_kernelIZZZNS0_12_GLOBAL__N_130modified_bessel_i0_kernel_cudaERNS_18TensorIteratorBaseEENKUlvE_clEvENKUlvE_clEvEUldE_St5arrayIPcLm2EELi4E23TrivialOffsetCalculatorILi1EjESC_NS0_6memory15LoadWithoutCastENSD_16StoreWithoutCastEEEviT_T0_T2_T3_T4_T5_,comdat
.Lfunc_end6:
	.size	_ZN2at6native27unrolled_elementwise_kernelIZZZNS0_12_GLOBAL__N_130modified_bessel_i0_kernel_cudaERNS_18TensorIteratorBaseEENKUlvE_clEvENKUlvE_clEvEUldE_St5arrayIPcLm2EELi4E23TrivialOffsetCalculatorILi1EjESC_NS0_6memory15LoadWithoutCastENSD_16StoreWithoutCastEEEviT_T0_T2_T3_T4_T5_, .Lfunc_end6-_ZN2at6native27unrolled_elementwise_kernelIZZZNS0_12_GLOBAL__N_130modified_bessel_i0_kernel_cudaERNS_18TensorIteratorBaseEENKUlvE_clEvENKUlvE_clEvEUldE_St5arrayIPcLm2EELi4E23TrivialOffsetCalculatorILi1EjESC_NS0_6memory15LoadWithoutCastENSD_16StoreWithoutCastEEEviT_T0_T2_T3_T4_T5_
                                        ; -- End function
	.set _ZN2at6native27unrolled_elementwise_kernelIZZZNS0_12_GLOBAL__N_130modified_bessel_i0_kernel_cudaERNS_18TensorIteratorBaseEENKUlvE_clEvENKUlvE_clEvEUldE_St5arrayIPcLm2EELi4E23TrivialOffsetCalculatorILi1EjESC_NS0_6memory15LoadWithoutCastENSD_16StoreWithoutCastEEEviT_T0_T2_T3_T4_T5_.num_vgpr, max(32, .L_ZN2at6native25elementwise_kernel_helperILb0EZZZNS0_12_GLOBAL__N_130modified_bessel_i0_kernel_cudaERNS_18TensorIteratorBaseEENKUlvE_clEvENKUlvE_clEvEUldE_NS0_6memory8policies11unroll_baseILi256ESt5arrayIPcLm2EE23TrivialOffsetCalculatorILi1EjESF_NS8_15LoadWithoutCastENS8_16StoreWithoutCastELi4ELi1EEEEEvT0_T1_.num_vgpr)
	.set _ZN2at6native27unrolled_elementwise_kernelIZZZNS0_12_GLOBAL__N_130modified_bessel_i0_kernel_cudaERNS_18TensorIteratorBaseEENKUlvE_clEvENKUlvE_clEvEUldE_St5arrayIPcLm2EELi4E23TrivialOffsetCalculatorILi1EjESC_NS0_6memory15LoadWithoutCastENSD_16StoreWithoutCastEEEviT_T0_T2_T3_T4_T5_.num_agpr, max(0, .L_ZN2at6native25elementwise_kernel_helperILb0EZZZNS0_12_GLOBAL__N_130modified_bessel_i0_kernel_cudaERNS_18TensorIteratorBaseEENKUlvE_clEvENKUlvE_clEvEUldE_NS0_6memory8policies11unroll_baseILi256ESt5arrayIPcLm2EE23TrivialOffsetCalculatorILi1EjESF_NS8_15LoadWithoutCastENS8_16StoreWithoutCastELi4ELi1EEEEEvT0_T1_.num_agpr)
	.set _ZN2at6native27unrolled_elementwise_kernelIZZZNS0_12_GLOBAL__N_130modified_bessel_i0_kernel_cudaERNS_18TensorIteratorBaseEENKUlvE_clEvENKUlvE_clEvEUldE_St5arrayIPcLm2EELi4E23TrivialOffsetCalculatorILi1EjESC_NS0_6memory15LoadWithoutCastENSD_16StoreWithoutCastEEEviT_T0_T2_T3_T4_T5_.numbered_sgpr, max(33, .L_ZN2at6native25elementwise_kernel_helperILb0EZZZNS0_12_GLOBAL__N_130modified_bessel_i0_kernel_cudaERNS_18TensorIteratorBaseEENKUlvE_clEvENKUlvE_clEvEUldE_NS0_6memory8policies11unroll_baseILi256ESt5arrayIPcLm2EE23TrivialOffsetCalculatorILi1EjESF_NS8_15LoadWithoutCastENS8_16StoreWithoutCastELi4ELi1EEEEEvT0_T1_.numbered_sgpr)
	.set _ZN2at6native27unrolled_elementwise_kernelIZZZNS0_12_GLOBAL__N_130modified_bessel_i0_kernel_cudaERNS_18TensorIteratorBaseEENKUlvE_clEvENKUlvE_clEvEUldE_St5arrayIPcLm2EELi4E23TrivialOffsetCalculatorILi1EjESC_NS0_6memory15LoadWithoutCastENSD_16StoreWithoutCastEEEviT_T0_T2_T3_T4_T5_.num_named_barrier, max(0, .L_ZN2at6native25elementwise_kernel_helperILb0EZZZNS0_12_GLOBAL__N_130modified_bessel_i0_kernel_cudaERNS_18TensorIteratorBaseEENKUlvE_clEvENKUlvE_clEvEUldE_NS0_6memory8policies11unroll_baseILi256ESt5arrayIPcLm2EE23TrivialOffsetCalculatorILi1EjESF_NS8_15LoadWithoutCastENS8_16StoreWithoutCastELi4ELi1EEEEEvT0_T1_.num_named_barrier)
	.set _ZN2at6native27unrolled_elementwise_kernelIZZZNS0_12_GLOBAL__N_130modified_bessel_i0_kernel_cudaERNS_18TensorIteratorBaseEENKUlvE_clEvENKUlvE_clEvEUldE_St5arrayIPcLm2EELi4E23TrivialOffsetCalculatorILi1EjESC_NS0_6memory15LoadWithoutCastENSD_16StoreWithoutCastEEEviT_T0_T2_T3_T4_T5_.private_seg_size, 0+max(.L_ZN2at6native25elementwise_kernel_helperILb0EZZZNS0_12_GLOBAL__N_130modified_bessel_i0_kernel_cudaERNS_18TensorIteratorBaseEENKUlvE_clEvENKUlvE_clEvEUldE_NS0_6memory8policies11unroll_baseILi256ESt5arrayIPcLm2EE23TrivialOffsetCalculatorILi1EjESF_NS8_15LoadWithoutCastENS8_16StoreWithoutCastELi4ELi1EEEEEvT0_T1_.private_seg_size)
	.set _ZN2at6native27unrolled_elementwise_kernelIZZZNS0_12_GLOBAL__N_130modified_bessel_i0_kernel_cudaERNS_18TensorIteratorBaseEENKUlvE_clEvENKUlvE_clEvEUldE_St5arrayIPcLm2EELi4E23TrivialOffsetCalculatorILi1EjESC_NS0_6memory15LoadWithoutCastENSD_16StoreWithoutCastEEEviT_T0_T2_T3_T4_T5_.uses_vcc, or(1, .L_ZN2at6native25elementwise_kernel_helperILb0EZZZNS0_12_GLOBAL__N_130modified_bessel_i0_kernel_cudaERNS_18TensorIteratorBaseEENKUlvE_clEvENKUlvE_clEvEUldE_NS0_6memory8policies11unroll_baseILi256ESt5arrayIPcLm2EE23TrivialOffsetCalculatorILi1EjESF_NS8_15LoadWithoutCastENS8_16StoreWithoutCastELi4ELi1EEEEEvT0_T1_.uses_vcc)
	.set _ZN2at6native27unrolled_elementwise_kernelIZZZNS0_12_GLOBAL__N_130modified_bessel_i0_kernel_cudaERNS_18TensorIteratorBaseEENKUlvE_clEvENKUlvE_clEvEUldE_St5arrayIPcLm2EELi4E23TrivialOffsetCalculatorILi1EjESC_NS0_6memory15LoadWithoutCastENSD_16StoreWithoutCastEEEviT_T0_T2_T3_T4_T5_.uses_flat_scratch, or(0, .L_ZN2at6native25elementwise_kernel_helperILb0EZZZNS0_12_GLOBAL__N_130modified_bessel_i0_kernel_cudaERNS_18TensorIteratorBaseEENKUlvE_clEvENKUlvE_clEvEUldE_NS0_6memory8policies11unroll_baseILi256ESt5arrayIPcLm2EE23TrivialOffsetCalculatorILi1EjESF_NS8_15LoadWithoutCastENS8_16StoreWithoutCastELi4ELi1EEEEEvT0_T1_.uses_flat_scratch)
	.set _ZN2at6native27unrolled_elementwise_kernelIZZZNS0_12_GLOBAL__N_130modified_bessel_i0_kernel_cudaERNS_18TensorIteratorBaseEENKUlvE_clEvENKUlvE_clEvEUldE_St5arrayIPcLm2EELi4E23TrivialOffsetCalculatorILi1EjESC_NS0_6memory15LoadWithoutCastENSD_16StoreWithoutCastEEEviT_T0_T2_T3_T4_T5_.has_dyn_sized_stack, or(0, .L_ZN2at6native25elementwise_kernel_helperILb0EZZZNS0_12_GLOBAL__N_130modified_bessel_i0_kernel_cudaERNS_18TensorIteratorBaseEENKUlvE_clEvENKUlvE_clEvEUldE_NS0_6memory8policies11unroll_baseILi256ESt5arrayIPcLm2EE23TrivialOffsetCalculatorILi1EjESF_NS8_15LoadWithoutCastENS8_16StoreWithoutCastELi4ELi1EEEEEvT0_T1_.has_dyn_sized_stack)
	.set _ZN2at6native27unrolled_elementwise_kernelIZZZNS0_12_GLOBAL__N_130modified_bessel_i0_kernel_cudaERNS_18TensorIteratorBaseEENKUlvE_clEvENKUlvE_clEvEUldE_St5arrayIPcLm2EELi4E23TrivialOffsetCalculatorILi1EjESC_NS0_6memory15LoadWithoutCastENSD_16StoreWithoutCastEEEviT_T0_T2_T3_T4_T5_.has_recursion, or(0, .L_ZN2at6native25elementwise_kernel_helperILb0EZZZNS0_12_GLOBAL__N_130modified_bessel_i0_kernel_cudaERNS_18TensorIteratorBaseEENKUlvE_clEvENKUlvE_clEvEUldE_NS0_6memory8policies11unroll_baseILi256ESt5arrayIPcLm2EE23TrivialOffsetCalculatorILi1EjESF_NS8_15LoadWithoutCastENS8_16StoreWithoutCastELi4ELi1EEEEEvT0_T1_.has_recursion)
	.set _ZN2at6native27unrolled_elementwise_kernelIZZZNS0_12_GLOBAL__N_130modified_bessel_i0_kernel_cudaERNS_18TensorIteratorBaseEENKUlvE_clEvENKUlvE_clEvEUldE_St5arrayIPcLm2EELi4E23TrivialOffsetCalculatorILi1EjESC_NS0_6memory15LoadWithoutCastENSD_16StoreWithoutCastEEEviT_T0_T2_T3_T4_T5_.has_indirect_call, or(0, .L_ZN2at6native25elementwise_kernel_helperILb0EZZZNS0_12_GLOBAL__N_130modified_bessel_i0_kernel_cudaERNS_18TensorIteratorBaseEENKUlvE_clEvENKUlvE_clEvEUldE_NS0_6memory8policies11unroll_baseILi256ESt5arrayIPcLm2EE23TrivialOffsetCalculatorILi1EjESF_NS8_15LoadWithoutCastENS8_16StoreWithoutCastELi4ELi1EEEEEvT0_T1_.has_indirect_call)
	.section	.AMDGPU.csdata,"",@progbits
; Kernel info:
; codeLenInByte = 100
; TotalNumSgprs: 35
; NumVgprs: 38
; ScratchSize: 0
; MemoryBound: 0
; FloatMode: 240
; IeeeMode: 1
; LDSByteSize: 0 bytes/workgroup (compile time only)
; SGPRBlocks: 0
; VGPRBlocks: 4
; NumSGPRsForWavesPerEU: 35
; NumVGPRsForWavesPerEU: 38
; Occupancy: 16
; WaveLimiterHint : 0
; COMPUTE_PGM_RSRC2:SCRATCH_EN: 0
; COMPUTE_PGM_RSRC2:USER_SGPR: 6
; COMPUTE_PGM_RSRC2:TRAP_HANDLER: 0
; COMPUTE_PGM_RSRC2:TGID_X_EN: 1
; COMPUTE_PGM_RSRC2:TGID_Y_EN: 0
; COMPUTE_PGM_RSRC2:TGID_Z_EN: 0
; COMPUTE_PGM_RSRC2:TIDIG_COMP_CNT: 0
	.section	.text._ZN2at6native32elementwise_kernel_manual_unrollILi128ELi4EZNS0_22gpu_kernel_impl_nocastIZZZNS0_12_GLOBAL__N_130modified_bessel_i0_kernel_cudaERNS_18TensorIteratorBaseEENKUlvE_clEvENKUlvE_clEvEUldE_EEvS5_RKT_EUlibE_EEviT1_,"axG",@progbits,_ZN2at6native32elementwise_kernel_manual_unrollILi128ELi4EZNS0_22gpu_kernel_impl_nocastIZZZNS0_12_GLOBAL__N_130modified_bessel_i0_kernel_cudaERNS_18TensorIteratorBaseEENKUlvE_clEvENKUlvE_clEvEUldE_EEvS5_RKT_EUlibE_EEviT1_,comdat
	.globl	_ZN2at6native32elementwise_kernel_manual_unrollILi128ELi4EZNS0_22gpu_kernel_impl_nocastIZZZNS0_12_GLOBAL__N_130modified_bessel_i0_kernel_cudaERNS_18TensorIteratorBaseEENKUlvE_clEvENKUlvE_clEvEUldE_EEvS5_RKT_EUlibE_EEviT1_ ; -- Begin function _ZN2at6native32elementwise_kernel_manual_unrollILi128ELi4EZNS0_22gpu_kernel_impl_nocastIZZZNS0_12_GLOBAL__N_130modified_bessel_i0_kernel_cudaERNS_18TensorIteratorBaseEENKUlvE_clEvENKUlvE_clEvEUldE_EEvS5_RKT_EUlibE_EEviT1_
	.p2align	8
	.type	_ZN2at6native32elementwise_kernel_manual_unrollILi128ELi4EZNS0_22gpu_kernel_impl_nocastIZZZNS0_12_GLOBAL__N_130modified_bessel_i0_kernel_cudaERNS_18TensorIteratorBaseEENKUlvE_clEvENKUlvE_clEvEUldE_EEvS5_RKT_EUlibE_EEviT1_,@function
_ZN2at6native32elementwise_kernel_manual_unrollILi128ELi4EZNS0_22gpu_kernel_impl_nocastIZZZNS0_12_GLOBAL__N_130modified_bessel_i0_kernel_cudaERNS_18TensorIteratorBaseEENKUlvE_clEvENKUlvE_clEvEUldE_EEvS5_RKT_EUlibE_EEviT1_: ; @_ZN2at6native32elementwise_kernel_manual_unrollILi128ELi4EZNS0_22gpu_kernel_impl_nocastIZZZNS0_12_GLOBAL__N_130modified_bessel_i0_kernel_cudaERNS_18TensorIteratorBaseEENKUlvE_clEvENKUlvE_clEvEUldE_EEvS5_RKT_EUlibE_EEviT1_
; %bb.0:
	s_clause 0x1
	s_load_dword s22, s[4:5], 0x8
	s_load_dword s27, s[4:5], 0x0
	v_lshl_or_b32 v5, s6, 9, v0
	s_add_u32 s2, s4, 8
	s_addc_u32 s3, s5, 0
	s_mov_b32 s0, exec_lo
	v_or_b32_e32 v12, 0x180, v5
	s_waitcnt lgkmcnt(0)
	s_add_i32 s23, s22, -1
	s_cmp_gt_u32 s23, 1
	s_cselect_b32 s24, -1, 0
	v_cmpx_le_i32_e64 s27, v12
	s_xor_b32 s25, exec_lo, s0
	s_cbranch_execz .LBB7_7
; %bb.1:
	s_clause 0x3
	s_load_dwordx4 s[12:15], s[2:3], 0x4
	s_load_dwordx2 s[16:17], s[2:3], 0x14
	s_load_dwordx4 s[8:11], s[2:3], 0xc4
	s_load_dwordx4 s[4:7], s[2:3], 0x148
	s_cmp_lg_u32 s22, 0
	s_mov_b32 s30, exec_lo
	s_cselect_b32 s29, -1, 0
	s_add_u32 s18, s2, 0xc4
	s_addc_u32 s19, s3, 0
	s_min_u32 s28, s23, 15
	s_cmp_gt_u32 s22, 1
	s_cselect_b32 s26, -1, 0
	v_cmpx_gt_i32_e64 s27, v5
	s_cbranch_execz .LBB7_14
; %bb.2:
	s_andn2_b32 vcc_lo, exec_lo, s24
	s_cbranch_vccnz .LBB7_21
; %bb.3:
	s_andn2_b32 vcc_lo, exec_lo, s29
	s_cbranch_vccnz .LBB7_89
; %bb.4:
	s_add_i32 s33, s28, 1
	s_cmp_eq_u32 s23, 2
	s_cbranch_scc1 .LBB7_91
; %bb.5:
	v_mov_b32_e32 v2, 0
	v_mov_b32_e32 v0, 0
	;; [unrolled: 1-line block ×3, first 2 shown]
	s_and_b32 s31, s33, 28
	s_mov_b32 s34, 0
	s_mov_b64 s[0:1], s[2:3]
	s_mov_b64 s[20:21], s[18:19]
.LBB7_6:                                ; =>This Inner Loop Header: Depth=1
	s_clause 0x1
	s_load_dwordx8 s[36:43], s[0:1], 0x4
	s_load_dwordx4 s[52:55], s[0:1], 0x24
	s_load_dwordx8 s[44:51], s[20:21], 0x0
	s_add_u32 s0, s0, 48
	s_addc_u32 s1, s1, 0
	s_add_i32 s34, s34, 4
	s_add_u32 s20, s20, 32
	s_addc_u32 s21, s21, 0
	s_cmp_lg_u32 s31, s34
	s_waitcnt lgkmcnt(0)
	v_mul_hi_u32 v3, s37, v1
	v_add_nc_u32_e32 v3, v1, v3
	v_lshrrev_b32_e32 v3, s38, v3
	v_mul_hi_u32 v4, s40, v3
	v_mul_lo_u32 v7, v3, s36
	v_add_nc_u32_e32 v4, v3, v4
	v_sub_nc_u32_e32 v1, v1, v7
	v_lshrrev_b32_e32 v4, s41, v4
	v_mul_lo_u32 v7, v1, s44
	v_mul_lo_u32 v9, v1, s45
	v_mul_hi_u32 v6, s43, v4
	v_add_nc_u32_e32 v6, v4, v6
	v_lshrrev_b32_e32 v6, s52, v6
	v_mul_hi_u32 v8, s54, v6
	v_mul_lo_u32 v10, v6, s42
	v_add_nc_u32_e32 v1, v6, v8
	v_mul_lo_u32 v8, v4, s39
	v_sub_nc_u32_e32 v4, v4, v10
	v_lshrrev_b32_e32 v1, s55, v1
	v_mul_lo_u32 v10, v4, s48
	v_mul_lo_u32 v4, v4, s49
	v_sub_nc_u32_e32 v3, v3, v8
	v_mul_lo_u32 v11, v1, s53
	v_mul_lo_u32 v8, v3, s46
	;; [unrolled: 1-line block ×3, first 2 shown]
	v_sub_nc_u32_e32 v6, v6, v11
	v_add3_u32 v0, v7, v0, v8
	v_mul_lo_u32 v11, v6, s50
	v_mul_lo_u32 v6, v6, s51
	v_add3_u32 v2, v9, v2, v3
	v_add3_u32 v0, v10, v0, v11
	;; [unrolled: 1-line block ×3, first 2 shown]
	s_cbranch_scc1 .LBB7_6
	s_branch .LBB7_92
.LBB7_7:
	s_andn2_saveexec_b32 s0, s25
	s_cbranch_execz .LBB7_125
.LBB7_8:
	v_cndmask_b32_e64 v4, 0, 1, s24
	s_andn2_b32 vcc_lo, exec_lo, s24
	s_cbranch_vccnz .LBB7_20
; %bb.9:
	s_cmp_lg_u32 s22, 0
	s_waitcnt lgkmcnt(0)
	s_mov_b32 s6, 0
	s_cbranch_scc0 .LBB7_23
; %bb.10:
	s_min_u32 s8, s23, 15
	s_add_i32 s8, s8, 1
	s_cmp_eq_u32 s23, 2
	s_cbranch_scc1 .LBB7_24
; %bb.11:
	v_mov_b32_e32 v7, 0
	v_mov_b32_e32 v0, 0
	;; [unrolled: 1-line block ×3, first 2 shown]
	s_and_b32 s7, s8, 28
	s_add_u32 s0, s2, 0xc4
	s_addc_u32 s1, s3, 0
	s_mov_b32 s9, 0
	s_mov_b64 s[4:5], s[2:3]
.LBB7_12:                               ; =>This Inner Loop Header: Depth=1
	s_clause 0x1
	s_load_dwordx8 s[12:19], s[4:5], 0x4
	s_load_dwordx4 s[36:39], s[4:5], 0x24
	s_load_dwordx8 s[24:31], s[0:1], 0x0
	s_add_u32 s4, s4, 48
	s_addc_u32 s5, s5, 0
	s_add_i32 s9, s9, 4
	s_add_u32 s0, s0, 32
	s_addc_u32 s1, s1, 0
	s_cmp_lg_u32 s7, s9
	s_waitcnt lgkmcnt(0)
	v_mul_hi_u32 v2, s13, v1
	v_add_nc_u32_e32 v2, v1, v2
	v_lshrrev_b32_e32 v2, s14, v2
	v_mul_hi_u32 v3, s16, v2
	v_mul_lo_u32 v8, v2, s12
	v_add_nc_u32_e32 v3, v2, v3
	v_sub_nc_u32_e32 v1, v1, v8
	v_lshrrev_b32_e32 v3, s17, v3
	v_mul_lo_u32 v8, v1, s24
	v_mul_lo_u32 v10, v1, s25
	v_mul_hi_u32 v6, s19, v3
	v_add_nc_u32_e32 v6, v3, v6
	v_lshrrev_b32_e32 v6, s36, v6
	v_mul_hi_u32 v9, s38, v6
	v_mul_lo_u32 v11, v6, s18
	v_add_nc_u32_e32 v1, v6, v9
	v_mul_lo_u32 v9, v3, s15
	v_sub_nc_u32_e32 v3, v3, v11
	v_lshrrev_b32_e32 v1, s39, v1
	v_mul_lo_u32 v11, v3, s28
	v_mul_lo_u32 v3, v3, s29
	v_sub_nc_u32_e32 v2, v2, v9
	v_mul_lo_u32 v13, v1, s37
	v_mul_lo_u32 v9, v2, s26
	v_mul_lo_u32 v2, v2, s27
	v_sub_nc_u32_e32 v6, v6, v13
	v_add3_u32 v0, v8, v0, v9
	v_mul_lo_u32 v13, v6, s30
	v_mul_lo_u32 v6, v6, s31
	v_add3_u32 v2, v10, v7, v2
	v_add3_u32 v0, v11, v0, v13
	;; [unrolled: 1-line block ×3, first 2 shown]
	s_cbranch_scc1 .LBB7_12
; %bb.13:
	s_and_b32 s8, s8, 3
	s_cmp_eq_u32 s8, 0
	s_cbranch_scc0 .LBB7_25
	s_branch .LBB7_27
.LBB7_14:
	s_or_b32 exec_lo, exec_lo, s30
	s_mov_b32 s30, exec_lo
	v_cmpx_gt_i32_e64 s27, v5
	s_cbranch_execz .LBB7_103
.LBB7_15:
	s_andn2_b32 vcc_lo, exec_lo, s24
	s_cbranch_vccnz .LBB7_22
; %bb.16:
	s_andn2_b32 vcc_lo, exec_lo, s29
	s_cbranch_vccnz .LBB7_90
; %bb.17:
	s_add_i32 s33, s28, 1
	s_cmp_eq_u32 s23, 2
	s_cbranch_scc1 .LBB7_111
; %bb.18:
	v_mov_b32_e32 v2, 0
	v_mov_b32_e32 v0, 0
	;; [unrolled: 1-line block ×3, first 2 shown]
	s_and_b32 s31, s33, 28
	s_mov_b32 s34, 0
	s_mov_b64 s[0:1], s[2:3]
	s_mov_b64 s[20:21], s[18:19]
.LBB7_19:                               ; =>This Inner Loop Header: Depth=1
	s_clause 0x1
	s_load_dwordx8 s[36:43], s[0:1], 0x4
	s_load_dwordx4 s[52:55], s[0:1], 0x24
	s_load_dwordx8 s[44:51], s[20:21], 0x0
	s_add_u32 s0, s0, 48
	s_addc_u32 s1, s1, 0
	s_add_i32 s34, s34, 4
	s_add_u32 s20, s20, 32
	s_addc_u32 s21, s21, 0
	s_cmp_eq_u32 s31, s34
	s_waitcnt lgkmcnt(0)
	v_mul_hi_u32 v3, s37, v1
	v_add_nc_u32_e32 v3, v1, v3
	v_lshrrev_b32_e32 v3, s38, v3
	v_mul_hi_u32 v4, s40, v3
	v_mul_lo_u32 v7, v3, s36
	v_add_nc_u32_e32 v4, v3, v4
	v_sub_nc_u32_e32 v1, v1, v7
	v_lshrrev_b32_e32 v4, s41, v4
	v_mul_lo_u32 v7, v1, s44
	v_mul_lo_u32 v9, v1, s45
	v_mul_hi_u32 v6, s43, v4
	v_add_nc_u32_e32 v6, v4, v6
	v_lshrrev_b32_e32 v6, s52, v6
	v_mul_hi_u32 v8, s54, v6
	v_mul_lo_u32 v10, v6, s42
	v_add_nc_u32_e32 v1, v6, v8
	v_mul_lo_u32 v8, v4, s39
	v_sub_nc_u32_e32 v4, v4, v10
	v_lshrrev_b32_e32 v1, s55, v1
	v_mul_lo_u32 v10, v4, s48
	v_mul_lo_u32 v4, v4, s49
	v_sub_nc_u32_e32 v3, v3, v8
	v_mul_lo_u32 v11, v1, s53
	v_mul_lo_u32 v8, v3, s46
	;; [unrolled: 1-line block ×3, first 2 shown]
	v_sub_nc_u32_e32 v6, v6, v11
	v_add3_u32 v0, v7, v0, v8
	v_mul_lo_u32 v11, v6, s50
	v_mul_lo_u32 v6, v6, s51
	v_add3_u32 v2, v9, v2, v3
	v_add3_u32 v0, v10, v0, v11
	;; [unrolled: 1-line block ×3, first 2 shown]
	s_cbranch_scc0 .LBB7_19
	s_branch .LBB7_112
.LBB7_20:
	s_waitcnt lgkmcnt(0)
	s_mov_b32 s6, -1
                                        ; implicit-def: $vgpr0
                                        ; implicit-def: $vgpr7
	s_branch .LBB7_27
.LBB7_21:
                                        ; implicit-def: $vgpr0
                                        ; implicit-def: $vgpr2
	s_branch .LBB7_96
.LBB7_22:
                                        ; implicit-def: $vgpr0
                                        ; implicit-def: $vgpr2
	s_branch .LBB7_116
.LBB7_23:
	v_mov_b32_e32 v0, 0
	v_mov_b32_e32 v7, 0
	s_branch .LBB7_27
.LBB7_24:
	v_mov_b32_e32 v0, 0
	v_mov_b32_e32 v7, 0
	;; [unrolled: 1-line block ×3, first 2 shown]
	s_mov_b32 s7, 0
	s_and_b32 s8, s8, 3
	s_cmp_eq_u32 s8, 0
	s_cbranch_scc1 .LBB7_27
.LBB7_25:
	s_lshl_b32 s0, s7, 3
	s_mul_i32 s4, s7, 12
	s_add_u32 s0, s2, s0
	s_addc_u32 s1, s3, 0
	s_add_u32 s0, s0, 0xc4
	s_addc_u32 s1, s1, 0
	;; [unrolled: 2-line block ×3, first 2 shown]
	.p2align	6
.LBB7_26:                               ; =>This Inner Loop Header: Depth=1
	s_clause 0x1
	s_load_dwordx2 s[10:11], s[4:5], 0x4
	s_load_dword s7, s[4:5], 0xc
	s_load_dwordx2 s[12:13], s[0:1], 0x0
	s_add_u32 s4, s4, 12
	s_addc_u32 s5, s5, 0
	s_add_u32 s0, s0, 8
	s_addc_u32 s1, s1, 0
	s_add_i32 s8, s8, -1
	s_cmp_lg_u32 s8, 0
	s_waitcnt lgkmcnt(0)
	v_mul_hi_u32 v2, s11, v1
	v_add_nc_u32_e32 v2, v1, v2
	v_lshrrev_b32_e32 v2, s7, v2
	v_mul_lo_u32 v3, v2, s10
	v_sub_nc_u32_e32 v3, v1, v3
	v_mad_u64_u32 v[0:1], null, v3, s12, v[0:1]
	v_mad_u64_u32 v[7:8], null, v3, s13, v[7:8]
	v_mov_b32_e32 v1, v2
	s_cbranch_scc1 .LBB7_26
.LBB7_27:
	s_andn2_b32 vcc_lo, exec_lo, s6
	s_cbranch_vccnz .LBB7_30
; %bb.28:
	s_clause 0x1
	s_load_dwordx4 s[4:7], s[2:3], 0x4
	s_load_dwordx2 s[0:1], s[2:3], 0xc4
	s_cmp_lt_u32 s22, 2
	s_waitcnt lgkmcnt(0)
	v_mul_hi_u32 v0, s5, v5
	v_add_nc_u32_e32 v0, v5, v0
	v_lshrrev_b32_e32 v1, s6, v0
	v_mul_lo_u32 v0, v1, s4
	v_sub_nc_u32_e32 v2, v5, v0
	v_mul_lo_u32 v0, v2, s0
	v_mul_lo_u32 v7, v2, s1
	s_cbranch_scc1 .LBB7_30
; %bb.29:
	s_clause 0x1
	s_load_dwordx4 s[4:7], s[2:3], 0x10
	s_load_dwordx2 s[0:1], s[2:3], 0xcc
	s_waitcnt lgkmcnt(0)
	v_mul_hi_u32 v2, s5, v1
	v_add_nc_u32_e32 v2, v1, v2
	v_lshrrev_b32_e32 v2, s6, v2
	v_mul_lo_u32 v2, v2, s4
	v_sub_nc_u32_e32 v2, v1, v2
	v_mad_u64_u32 v[0:1], null, v2, s0, v[0:1]
	v_mad_u64_u32 v[7:8], null, v2, s1, v[7:8]
.LBB7_30:
	v_cmp_ne_u32_e32 vcc_lo, 1, v4
	v_add_nc_u32_e32 v3, 0x80, v5
	s_cbranch_vccnz .LBB7_36
; %bb.31:
	s_cmp_lg_u32 s22, 0
	s_mov_b32 s6, 0
	s_cbranch_scc0 .LBB7_37
; %bb.32:
	s_min_u32 s8, s23, 15
	s_add_i32 s8, s8, 1
	s_cmp_eq_u32 s23, 2
	s_cbranch_scc1 .LBB7_38
; %bb.33:
	v_mov_b32_e32 v10, 0
	v_mov_b32_e32 v1, 0
	;; [unrolled: 1-line block ×3, first 2 shown]
	s_and_b32 s7, s8, 28
	s_add_u32 s0, s2, 0xc4
	s_addc_u32 s1, s3, 0
	s_mov_b32 s9, 0
	s_mov_b64 s[4:5], s[2:3]
.LBB7_34:                               ; =>This Inner Loop Header: Depth=1
	s_clause 0x1
	s_load_dwordx8 s[12:19], s[4:5], 0x4
	s_load_dwordx4 s[36:39], s[4:5], 0x24
	s_load_dwordx8 s[24:31], s[0:1], 0x0
	s_add_u32 s4, s4, 48
	s_addc_u32 s5, s5, 0
	s_add_i32 s9, s9, 4
	s_add_u32 s0, s0, 32
	s_addc_u32 s1, s1, 0
	s_cmp_lg_u32 s7, s9
	s_waitcnt lgkmcnt(0)
	v_mul_hi_u32 v6, s13, v2
	v_add_nc_u32_e32 v6, v2, v6
	v_lshrrev_b32_e32 v6, s14, v6
	v_mul_hi_u32 v8, s16, v6
	v_mul_lo_u32 v11, v6, s12
	v_add_nc_u32_e32 v8, v6, v8
	v_sub_nc_u32_e32 v2, v2, v11
	v_lshrrev_b32_e32 v8, s17, v8
	v_mul_lo_u32 v11, v2, s24
	v_mul_lo_u32 v14, v2, s25
	v_mul_hi_u32 v9, s19, v8
	v_add_nc_u32_e32 v9, v8, v9
	v_lshrrev_b32_e32 v9, s36, v9
	v_mul_hi_u32 v13, s38, v9
	v_mul_lo_u32 v15, v9, s18
	v_add_nc_u32_e32 v2, v9, v13
	v_mul_lo_u32 v13, v8, s15
	v_sub_nc_u32_e32 v8, v8, v15
	v_lshrrev_b32_e32 v2, s39, v2
	v_mul_lo_u32 v15, v8, s28
	v_mul_lo_u32 v8, v8, s29
	v_sub_nc_u32_e32 v6, v6, v13
	v_mul_lo_u32 v16, v2, s37
	v_mul_lo_u32 v13, v6, s26
	;; [unrolled: 1-line block ×3, first 2 shown]
	v_sub_nc_u32_e32 v9, v9, v16
	v_add3_u32 v1, v11, v1, v13
	v_mul_lo_u32 v16, v9, s30
	v_mul_lo_u32 v9, v9, s31
	v_add3_u32 v6, v14, v10, v6
	v_add3_u32 v1, v15, v1, v16
	;; [unrolled: 1-line block ×3, first 2 shown]
	s_cbranch_scc1 .LBB7_34
; %bb.35:
	s_and_b32 s8, s8, 3
	s_cmp_eq_u32 s8, 0
	s_cbranch_scc0 .LBB7_39
	s_branch .LBB7_41
.LBB7_36:
	s_mov_b32 s6, -1
                                        ; implicit-def: $vgpr1
                                        ; implicit-def: $vgpr10
	s_branch .LBB7_41
.LBB7_37:
	v_mov_b32_e32 v1, 0
	v_mov_b32_e32 v10, 0
	s_branch .LBB7_41
.LBB7_38:
	v_mov_b32_e32 v1, 0
	v_mov_b32_e32 v10, 0
	;; [unrolled: 1-line block ×3, first 2 shown]
	s_mov_b32 s7, 0
	s_and_b32 s8, s8, 3
	s_cmp_eq_u32 s8, 0
	s_cbranch_scc1 .LBB7_41
.LBB7_39:
	s_lshl_b32 s0, s7, 3
	s_mul_i32 s4, s7, 12
	s_add_u32 s0, s2, s0
	s_addc_u32 s1, s3, 0
	s_add_u32 s0, s0, 0xc4
	s_addc_u32 s1, s1, 0
	;; [unrolled: 2-line block ×3, first 2 shown]
	.p2align	6
.LBB7_40:                               ; =>This Inner Loop Header: Depth=1
	s_clause 0x1
	s_load_dwordx2 s[10:11], s[4:5], 0x4
	s_load_dword s7, s[4:5], 0xc
	s_load_dwordx2 s[12:13], s[0:1], 0x0
	s_add_u32 s4, s4, 12
	s_addc_u32 s5, s5, 0
	s_add_u32 s0, s0, 8
	s_addc_u32 s1, s1, 0
	s_add_i32 s8, s8, -1
	s_cmp_lg_u32 s8, 0
	s_waitcnt lgkmcnt(0)
	v_mul_hi_u32 v6, s11, v2
	v_add_nc_u32_e32 v6, v2, v6
	v_lshrrev_b32_e32 v6, s7, v6
	v_mul_lo_u32 v8, v6, s10
	v_sub_nc_u32_e32 v8, v2, v8
	v_mad_u64_u32 v[1:2], null, v8, s12, v[1:2]
	v_mad_u64_u32 v[10:11], null, v8, s13, v[10:11]
	v_mov_b32_e32 v2, v6
	s_cbranch_scc1 .LBB7_40
.LBB7_41:
	s_andn2_b32 vcc_lo, exec_lo, s6
	s_cbranch_vccnz .LBB7_44
; %bb.42:
	s_clause 0x1
	s_load_dwordx4 s[4:7], s[2:3], 0x4
	s_load_dwordx2 s[0:1], s[2:3], 0xc4
	s_cmp_lt_u32 s22, 2
	s_waitcnt lgkmcnt(0)
	v_mul_hi_u32 v1, s5, v3
	v_add_nc_u32_e32 v1, v3, v1
	v_lshrrev_b32_e32 v2, s6, v1
	v_mul_lo_u32 v1, v2, s4
	v_sub_nc_u32_e32 v3, v3, v1
	v_mul_lo_u32 v1, v3, s0
	v_mul_lo_u32 v10, v3, s1
	s_cbranch_scc1 .LBB7_44
; %bb.43:
	s_clause 0x1
	s_load_dwordx4 s[4:7], s[2:3], 0x10
	s_load_dwordx2 s[0:1], s[2:3], 0xcc
	s_waitcnt lgkmcnt(0)
	v_mul_hi_u32 v3, s5, v2
	v_add_nc_u32_e32 v3, v2, v3
	v_lshrrev_b32_e32 v3, s6, v3
	v_mul_lo_u32 v3, v3, s4
	v_sub_nc_u32_e32 v3, v2, v3
	v_mad_u64_u32 v[1:2], null, v3, s0, v[1:2]
	v_mad_u64_u32 v[10:11], null, v3, s1, v[10:11]
.LBB7_44:
	v_cmp_ne_u32_e32 vcc_lo, 1, v4
	v_add_nc_u32_e32 v5, 0x100, v5
	s_cbranch_vccnz .LBB7_50
; %bb.45:
	s_cmp_lg_u32 s22, 0
	s_mov_b32 s6, 0
	s_cbranch_scc0 .LBB7_51
; %bb.46:
	s_min_u32 s8, s23, 15
	s_add_i32 s8, s8, 1
	s_cmp_eq_u32 s23, 2
	s_cbranch_scc1 .LBB7_52
; %bb.47:
	v_mov_b32_e32 v8, 0
	v_mov_b32_e32 v2, 0
	v_mov_b32_e32 v3, v5
	s_and_b32 s7, s8, 28
	s_add_u32 s0, s2, 0xc4
	s_addc_u32 s1, s3, 0
	s_mov_b32 s9, 0
	s_mov_b64 s[4:5], s[2:3]
.LBB7_48:                               ; =>This Inner Loop Header: Depth=1
	s_clause 0x1
	s_load_dwordx8 s[12:19], s[4:5], 0x4
	s_load_dwordx4 s[36:39], s[4:5], 0x24
	s_load_dwordx8 s[24:31], s[0:1], 0x0
	s_add_u32 s4, s4, 48
	s_addc_u32 s5, s5, 0
	s_add_i32 s9, s9, 4
	s_add_u32 s0, s0, 32
	s_addc_u32 s1, s1, 0
	s_cmp_lg_u32 s7, s9
	s_waitcnt lgkmcnt(0)
	v_mul_hi_u32 v6, s13, v3
	v_add_nc_u32_e32 v6, v3, v6
	v_lshrrev_b32_e32 v6, s14, v6
	v_mul_hi_u32 v9, s16, v6
	v_mul_lo_u32 v13, v6, s12
	v_add_nc_u32_e32 v9, v6, v9
	v_sub_nc_u32_e32 v3, v3, v13
	v_lshrrev_b32_e32 v9, s17, v9
	v_mul_lo_u32 v13, v3, s24
	v_mul_lo_u32 v15, v3, s25
	v_mul_hi_u32 v11, s19, v9
	v_add_nc_u32_e32 v11, v9, v11
	v_lshrrev_b32_e32 v11, s36, v11
	v_mul_hi_u32 v14, s38, v11
	v_mul_lo_u32 v16, v11, s18
	v_add_nc_u32_e32 v3, v11, v14
	v_mul_lo_u32 v14, v9, s15
	v_sub_nc_u32_e32 v9, v9, v16
	v_lshrrev_b32_e32 v3, s39, v3
	v_mul_lo_u32 v16, v9, s28
	v_mul_lo_u32 v9, v9, s29
	v_sub_nc_u32_e32 v6, v6, v14
	v_mul_lo_u32 v17, v3, s37
	v_mul_lo_u32 v14, v6, s26
	;; [unrolled: 1-line block ×3, first 2 shown]
	v_sub_nc_u32_e32 v11, v11, v17
	v_add3_u32 v2, v13, v2, v14
	v_mul_lo_u32 v17, v11, s30
	v_mul_lo_u32 v11, v11, s31
	v_add3_u32 v6, v15, v8, v6
	v_add3_u32 v2, v16, v2, v17
	;; [unrolled: 1-line block ×3, first 2 shown]
	s_cbranch_scc1 .LBB7_48
; %bb.49:
	s_and_b32 s8, s8, 3
	s_cmp_eq_u32 s8, 0
	s_cbranch_scc0 .LBB7_53
	s_branch .LBB7_55
.LBB7_50:
	s_mov_b32 s6, -1
                                        ; implicit-def: $vgpr2
                                        ; implicit-def: $vgpr8
	s_branch .LBB7_55
.LBB7_51:
	v_mov_b32_e32 v2, 0
	v_mov_b32_e32 v8, 0
	s_branch .LBB7_55
.LBB7_52:
	v_mov_b32_e32 v2, 0
	v_mov_b32_e32 v8, 0
	;; [unrolled: 1-line block ×3, first 2 shown]
	s_mov_b32 s7, 0
	s_and_b32 s8, s8, 3
	s_cmp_eq_u32 s8, 0
	s_cbranch_scc1 .LBB7_55
.LBB7_53:
	s_lshl_b32 s0, s7, 3
	s_mul_i32 s4, s7, 12
	s_add_u32 s0, s2, s0
	s_addc_u32 s1, s3, 0
	s_add_u32 s0, s0, 0xc4
	s_addc_u32 s1, s1, 0
	;; [unrolled: 2-line block ×3, first 2 shown]
	.p2align	6
.LBB7_54:                               ; =>This Inner Loop Header: Depth=1
	s_clause 0x1
	s_load_dwordx2 s[10:11], s[4:5], 0x4
	s_load_dword s7, s[4:5], 0xc
	s_load_dwordx2 s[12:13], s[0:1], 0x0
	s_add_u32 s4, s4, 12
	s_addc_u32 s5, s5, 0
	s_add_u32 s0, s0, 8
	s_addc_u32 s1, s1, 0
	s_add_i32 s8, s8, -1
	s_cmp_lg_u32 s8, 0
	s_waitcnt lgkmcnt(0)
	v_mul_hi_u32 v6, s11, v3
	v_add_nc_u32_e32 v6, v3, v6
	v_lshrrev_b32_e32 v6, s7, v6
	v_mul_lo_u32 v9, v6, s10
	v_sub_nc_u32_e32 v9, v3, v9
	v_mad_u64_u32 v[2:3], null, v9, s12, v[2:3]
	v_mad_u64_u32 v[8:9], null, v9, s13, v[8:9]
	v_mov_b32_e32 v3, v6
	s_cbranch_scc1 .LBB7_54
.LBB7_55:
	s_andn2_b32 vcc_lo, exec_lo, s6
	s_cbranch_vccnz .LBB7_58
; %bb.56:
	s_clause 0x1
	s_load_dwordx4 s[4:7], s[2:3], 0x4
	s_load_dwordx2 s[0:1], s[2:3], 0xc4
	s_cmp_lt_u32 s22, 2
	s_waitcnt lgkmcnt(0)
	v_mul_hi_u32 v2, s5, v5
	v_add_nc_u32_e32 v2, v5, v2
	v_lshrrev_b32_e32 v3, s6, v2
	v_mul_lo_u32 v2, v3, s4
	v_sub_nc_u32_e32 v5, v5, v2
	v_mul_lo_u32 v2, v5, s0
	v_mul_lo_u32 v8, v5, s1
	s_cbranch_scc1 .LBB7_58
; %bb.57:
	s_clause 0x1
	s_load_dwordx4 s[4:7], s[2:3], 0x10
	s_load_dwordx2 s[0:1], s[2:3], 0xcc
	s_waitcnt lgkmcnt(0)
	v_mul_hi_u32 v5, s5, v3
	v_add_nc_u32_e32 v5, v3, v5
	v_lshrrev_b32_e32 v5, s6, v5
	v_mul_lo_u32 v5, v5, s4
	v_sub_nc_u32_e32 v5, v3, v5
	v_mad_u64_u32 v[2:3], null, v5, s0, v[2:3]
	v_mad_u64_u32 v[8:9], null, v5, s1, v[8:9]
.LBB7_58:
	v_cmp_ne_u32_e32 vcc_lo, 1, v4
	s_cbranch_vccnz .LBB7_64
; %bb.59:
	s_cmp_lg_u32 s22, 0
	s_mov_b32 s6, 0
	s_cbranch_scc0 .LBB7_65
; %bb.60:
	s_min_u32 s8, s23, 15
	s_add_i32 s8, s8, 1
	s_cmp_eq_u32 s23, 2
	s_cbranch_scc1 .LBB7_66
; %bb.61:
	v_mov_b32_e32 v5, 0
	v_mov_b32_e32 v3, 0
	;; [unrolled: 1-line block ×3, first 2 shown]
	s_and_b32 s7, s8, 28
	s_add_u32 s0, s2, 0xc4
	s_addc_u32 s1, s3, 0
	s_mov_b32 s9, 0
	s_mov_b64 s[4:5], s[2:3]
.LBB7_62:                               ; =>This Inner Loop Header: Depth=1
	s_clause 0x1
	s_load_dwordx8 s[12:19], s[4:5], 0x4
	s_load_dwordx4 s[36:39], s[4:5], 0x24
	s_load_dwordx8 s[24:31], s[0:1], 0x0
	s_add_u32 s4, s4, 48
	s_addc_u32 s5, s5, 0
	s_add_i32 s9, s9, 4
	s_add_u32 s0, s0, 32
	s_addc_u32 s1, s1, 0
	s_cmp_lg_u32 s7, s9
	s_waitcnt lgkmcnt(0)
	v_mul_hi_u32 v6, s13, v4
	v_add_nc_u32_e32 v6, v4, v6
	v_lshrrev_b32_e32 v6, s14, v6
	v_mul_hi_u32 v9, s16, v6
	v_mul_lo_u32 v13, v6, s12
	v_add_nc_u32_e32 v9, v6, v9
	v_sub_nc_u32_e32 v4, v4, v13
	v_lshrrev_b32_e32 v9, s17, v9
	v_mul_lo_u32 v13, v4, s24
	v_mul_lo_u32 v15, v4, s25
	v_mul_hi_u32 v11, s19, v9
	v_add_nc_u32_e32 v11, v9, v11
	v_lshrrev_b32_e32 v11, s36, v11
	v_mul_hi_u32 v14, s38, v11
	v_mul_lo_u32 v16, v11, s18
	v_add_nc_u32_e32 v4, v11, v14
	v_mul_lo_u32 v14, v9, s15
	v_sub_nc_u32_e32 v9, v9, v16
	v_lshrrev_b32_e32 v4, s39, v4
	v_mul_lo_u32 v16, v9, s28
	v_mul_lo_u32 v9, v9, s29
	v_sub_nc_u32_e32 v6, v6, v14
	v_mul_lo_u32 v17, v4, s37
	v_mul_lo_u32 v14, v6, s26
	;; [unrolled: 1-line block ×3, first 2 shown]
	v_sub_nc_u32_e32 v11, v11, v17
	v_add3_u32 v3, v13, v3, v14
	v_mul_lo_u32 v17, v11, s30
	v_mul_lo_u32 v11, v11, s31
	v_add3_u32 v5, v15, v5, v6
	v_add3_u32 v3, v16, v3, v17
	;; [unrolled: 1-line block ×3, first 2 shown]
	s_cbranch_scc1 .LBB7_62
; %bb.63:
	s_and_b32 s8, s8, 3
	s_cmp_eq_u32 s8, 0
	s_cbranch_scc0 .LBB7_67
	s_branch .LBB7_69
.LBB7_64:
	s_mov_b32 s6, -1
                                        ; implicit-def: $vgpr3
                                        ; implicit-def: $vgpr5
	s_branch .LBB7_69
.LBB7_65:
	v_mov_b32_e32 v3, 0
	v_mov_b32_e32 v5, 0
	s_branch .LBB7_69
.LBB7_66:
	v_mov_b32_e32 v3, 0
	v_mov_b32_e32 v5, 0
	;; [unrolled: 1-line block ×3, first 2 shown]
	s_mov_b32 s7, 0
	s_and_b32 s8, s8, 3
	s_cmp_eq_u32 s8, 0
	s_cbranch_scc1 .LBB7_69
.LBB7_67:
	s_lshl_b32 s0, s7, 3
	s_mul_i32 s4, s7, 12
	s_add_u32 s0, s2, s0
	s_addc_u32 s1, s3, 0
	s_add_u32 s0, s0, 0xc4
	s_addc_u32 s1, s1, 0
	;; [unrolled: 2-line block ×3, first 2 shown]
	.p2align	6
.LBB7_68:                               ; =>This Inner Loop Header: Depth=1
	s_clause 0x1
	s_load_dwordx2 s[10:11], s[4:5], 0x4
	s_load_dword s7, s[4:5], 0xc
	s_load_dwordx2 s[12:13], s[0:1], 0x0
	s_add_u32 s4, s4, 12
	s_addc_u32 s5, s5, 0
	s_add_u32 s0, s0, 8
	s_addc_u32 s1, s1, 0
	s_add_i32 s8, s8, -1
	s_cmp_lg_u32 s8, 0
	s_waitcnt lgkmcnt(0)
	v_mul_hi_u32 v6, s11, v4
	v_add_nc_u32_e32 v6, v4, v6
	v_lshrrev_b32_e32 v9, s7, v6
	v_mul_lo_u32 v6, v9, s10
	v_sub_nc_u32_e32 v6, v4, v6
	v_mad_u64_u32 v[3:4], null, v6, s12, v[3:4]
	v_mad_u64_u32 v[5:6], null, v6, s13, v[5:6]
	v_mov_b32_e32 v4, v9
	s_cbranch_scc1 .LBB7_68
.LBB7_69:
	s_andn2_b32 vcc_lo, exec_lo, s6
	s_cbranch_vccnz .LBB7_72
; %bb.70:
	s_clause 0x1
	s_load_dwordx4 s[4:7], s[2:3], 0x4
	s_load_dwordx2 s[0:1], s[2:3], 0xc4
	s_cmp_lt_u32 s22, 2
	s_waitcnt lgkmcnt(0)
	v_mul_hi_u32 v3, s5, v12
	v_add_nc_u32_e32 v3, v12, v3
	v_lshrrev_b32_e32 v4, s6, v3
	v_mul_lo_u32 v3, v4, s4
	v_sub_nc_u32_e32 v5, v12, v3
	v_mul_lo_u32 v3, v5, s0
	v_mul_lo_u32 v5, v5, s1
	s_cbranch_scc1 .LBB7_72
; %bb.71:
	s_clause 0x1
	s_load_dwordx4 s[4:7], s[2:3], 0x10
	s_load_dwordx2 s[0:1], s[2:3], 0xcc
	s_waitcnt lgkmcnt(0)
	v_mul_hi_u32 v6, s5, v4
	v_add_nc_u32_e32 v6, v4, v6
	v_lshrrev_b32_e32 v6, s6, v6
	v_mul_lo_u32 v6, v6, s4
	v_sub_nc_u32_e32 v6, v4, v6
	v_mad_u64_u32 v[3:4], null, v6, s0, v[3:4]
	v_mad_u64_u32 v[5:6], null, v6, s1, v[5:6]
.LBB7_72:
	s_load_dwordx4 s[4:7], s[2:3], 0x148
	s_waitcnt lgkmcnt(0)
	global_load_dwordx2 v[11:12], v7, s[6:7]
                                        ; implicit-def: $vgpr6_vgpr7
	s_waitcnt vmcnt(0)
	v_cmp_ge_f64_e64 s0, 0x40200000, |v[11:12]|
	s_and_saveexec_b32 s1, s0
	s_xor_b32 s0, exec_lo, s1
	s_cbranch_execz .LBB7_74
; %bb.73:
	v_fma_f64 v[6:7], |v[11:12]|, 0.5, -2.0
	s_mov_b32 s2, 0x977da589
	s_mov_b32 s3, 0x3c833362
	;; [unrolled: 1-line block ×4, first 2 shown]
	v_fma_f64 v[13:14], v[6:7], s[8:9], s[2:3]
	s_mov_b32 s9, 0x3c545cb7
	s_mov_b32 s2, 0x721ebbb4
	;; [unrolled: 1-line block ×3, first 2 shown]
	v_fma_f64 v[15:16], v[6:7], v[13:14], s[8:9]
	s_mov_b32 s8, 0x3b39803f
	s_mov_b32 s9, 0xbc7abc9e
	v_add_f64 v[15:16], v[15:16], s[2:3]
	s_mov_b32 s2, 0x93f65eba
	s_mov_b32 s3, 0x3cdee6d8
	v_fma_f64 v[13:14], v[6:7], v[15:16], -v[13:14]
	v_add_f64 v[13:14], v[13:14], s[2:3]
	s_mov_b32 s2, 0xc297fbeb
	s_mov_b32 s3, 0xbd0a5022
	v_fma_f64 v[15:16], v[6:7], v[13:14], -v[15:16]
	;; [unrolled: 4-line block ×20, first 2 shown]
	v_add_f64 v[15:16], v[15:16], s[2:3]
	s_mov_b32 s2, 0x652b82fe
	s_mov_b32 s3, 0x3ff71547
	v_mul_f64 v[17:18], |v[11:12]|, s[2:3]
	s_mov_b32 s2, 0xf3dde3dd
	s_mov_b32 s3, 0x3f859961
	v_fma_f64 v[13:14], v[6:7], v[15:16], -v[13:14]
	v_rndne_f64_e32 v[17:18], v[17:18]
	v_add_f64 v[13:14], v[13:14], s[2:3]
	s_mov_b32 s2, 0xfefa39ef
	s_mov_b32 s3, 0xbfe62e42
	v_fma_f64 v[11:12], v[17:18], s[2:3], |v[11:12]|
	s_mov_b32 s2, 0xf121b6f0
	s_mov_b32 s3, 0xbf984e9e
	v_cvt_i32_f64_e32 v4, v[17:18]
	v_fma_f64 v[15:16], v[6:7], v[13:14], -v[15:16]
	v_fma_f64 v[11:12], v[17:18], s[8:9], v[11:12]
	s_mov_b32 s8, 0x6a5dcb37
	s_mov_b32 s9, 0x3e5ade15
	v_add_f64 v[15:16], v[15:16], s[2:3]
	s_mov_b32 s2, 0xfca7ab0c
	s_mov_b32 s3, 0x3e928af3
	v_fma_f64 v[19:20], v[11:12], s[8:9], s[2:3]
	s_mov_b32 s2, 0xcea8a32d
	s_mov_b32 s8, 0x623fde64
	;; [unrolled: 1-line block ×4, first 2 shown]
	v_fma_f64 v[13:14], v[6:7], v[15:16], -v[13:14]
	v_fma_f64 v[19:20], v[11:12], v[19:20], s[8:9]
	s_mov_b32 s8, 0x14761f6e
	s_mov_b32 s9, 0x3f2a01a0
	v_add_f64 v[13:14], v[13:14], s[2:3]
	s_mov_b32 s2, 0x7c89e6b0
	s_mov_b32 s3, 0x3efa0199
	v_fma_f64 v[19:20], v[11:12], v[19:20], s[2:3]
	s_mov_b32 s2, 0x342d06ea
	s_mov_b32 s3, 0xbfb84b70
	v_fma_f64 v[15:16], v[6:7], v[13:14], -v[15:16]
	v_fma_f64 v[19:20], v[11:12], v[19:20], s[8:9]
	s_mov_b32 s8, 0x11122322
	s_mov_b32 s9, 0x3f811111
	v_add_f64 v[15:16], v[15:16], s[2:3]
	s_mov_b32 s2, 0x1852b7b0
	s_mov_b32 s3, 0x3f56c16c
	v_fma_f64 v[19:20], v[11:12], v[19:20], s[2:3]
	s_mov_b32 s2, 0x77ac88c0
	s_mov_b32 s3, 0x3fc5f7ac
	;; [unrolled: 10-line block ×3, first 2 shown]
	v_fma_f64 v[15:16], v[6:7], v[13:14], -v[15:16]
	v_fma_f64 v[19:20], v[11:12], v[19:20], s[8:9]
	v_add_f64 v[15:16], v[15:16], s[2:3]
	s_mov_b32 s2, 11
	s_mov_b32 s3, 0x3fe00000
	v_fma_f64 v[19:20], v[11:12], v[19:20], s[2:3]
	s_mov_b32 s2, 0x9035a22a
	s_mov_b32 s3, 0x3fe5a84e
	v_fma_f64 v[6:7], v[6:7], v[15:16], -v[13:14]
	v_fma_f64 v[15:16], v[11:12], v[19:20], 1.0
	v_add_f64 v[6:7], v[6:7], s[2:3]
	v_fma_f64 v[11:12], v[11:12], v[15:16], 1.0
	v_add_f64 v[6:7], v[6:7], -v[13:14]
	v_ldexp_f64 v[11:12], v[11:12], v4
	v_mul_f64 v[6:7], v[6:7], 0.5
	v_mul_f64 v[6:7], v[11:12], v[6:7]
                                        ; implicit-def: $vgpr11_vgpr12
.LBB7_74:
	s_andn2_saveexec_b32 s1, s0
	s_cbranch_execz .LBB7_76
; %bb.75:
	v_and_b32_e32 v7, 0x7fffffff, v12
	v_mov_b32_e32 v6, v11
	s_mov_b32 s2, 0x66119130
	s_mov_b32 s3, 0xbc5646da
	;; [unrolled: 1-line block ×4, first 2 shown]
	v_div_scale_f64 v[13:14], null, v[6:7], v[6:7], 0x40400000
	v_div_scale_f64 v[6:7], vcc_lo, 0x40400000, v[6:7], 0x40400000
	v_cmp_gt_f64_e64 s0, 0x10000000, |v[11:12]|
	v_rcp_f64_e32 v[15:16], v[13:14]
	v_cndmask_b32_e64 v4, 0, 0x100, s0
	v_ldexp_f64 v[23:24], |v[11:12]|, v4
	v_fma_f64 v[17:18], -v[13:14], v[15:16], 1.0
	v_rsq_f64_e32 v[25:26], v[23:24]
	v_fma_f64 v[15:16], v[15:16], v[17:18], v[15:16]
	v_mul_f64 v[27:28], v[23:24], v[25:26]
	v_mul_f64 v[25:26], v[25:26], 0.5
	v_fma_f64 v[17:18], -v[13:14], v[15:16], 1.0
	v_fma_f64 v[29:30], -v[25:26], v[27:28], 0.5
	v_fma_f64 v[15:16], v[15:16], v[17:18], v[15:16]
	v_fma_f64 v[27:28], v[27:28], v[29:30], v[27:28]
	;; [unrolled: 1-line block ×3, first 2 shown]
	v_mul_f64 v[17:18], v[6:7], v[15:16]
	v_fma_f64 v[29:30], -v[27:28], v[27:28], v[23:24]
	v_fma_f64 v[6:7], -v[13:14], v[17:18], v[6:7]
	v_div_fmas_f64 v[6:7], v[6:7], v[15:16], v[17:18]
	v_cmp_nlt_f64_e64 vcc_lo, 0x40900000, |v[11:12]|
	v_div_fixup_f64 v[6:7], v[6:7], |v[11:12]|, 0x40400000
	v_add_f64 v[6:7], v[6:7], -2.0
	v_fma_f64 v[13:14], v[6:7], s[8:9], s[2:3]
	s_mov_b32 s9, 0x3c60adb7
	s_mov_b32 s2, 0x12d98421
	;; [unrolled: 1-line block ×3, first 2 shown]
	v_fma_f64 v[15:16], v[6:7], v[13:14], s[8:9]
	s_mov_b32 s8, 0x6a5dcb37
	s_mov_b32 s9, 0x3e5ade15
	v_add_f64 v[15:16], v[15:16], s[2:3]
	s_mov_b32 s2, 0x76041cd
	s_mov_b32 s3, 0x3c83f3dd
	v_fma_f64 v[13:14], v[6:7], v[15:16], -v[13:14]
	v_add_f64 v[13:14], v[13:14], s[2:3]
	s_mov_b32 s2, 0xabd21fe4
	s_mov_b32 s3, 0xbcb4600b
	v_fma_f64 v[15:16], v[6:7], v[13:14], -v[15:16]
	;; [unrolled: 4-line block ×15, first 2 shown]
	v_add_f64 v[13:14], v[13:14], s[2:3]
	s_mov_b32 s2, 0x652b82fe
	s_mov_b32 s3, 0x3ff71547
	v_mul_f64 v[17:18], |v[11:12]|, s[2:3]
	s_mov_b32 s2, 0xa9225b87
	s_mov_b32 s3, 0x3e2d2c64
	v_fma_f64 v[15:16], v[6:7], v[13:14], -v[15:16]
	v_rndne_f64_e32 v[17:18], v[17:18]
	v_add_f64 v[15:16], v[15:16], s[2:3]
	s_mov_b32 s2, 0xfefa39ef
	s_mov_b32 s3, 0xbfe62e42
	v_fma_f64 v[19:20], v[17:18], s[2:3], |v[11:12]|
	s_mov_b32 s2, 0x3b39803f
	s_mov_b32 s3, 0xbc7abc9e
	v_cvt_i32_f64_e32 v4, v[17:18]
	v_fma_f64 v[13:14], v[6:7], v[15:16], -v[13:14]
	v_fma_f64 v[19:20], v[17:18], s[2:3], v[19:20]
	s_mov_b32 s2, 0x80d6d56d
	s_mov_b32 s3, 0x3e585692
	v_add_f64 v[13:14], v[13:14], s[2:3]
	s_mov_b32 s2, 0xfca7ab0c
	s_mov_b32 s3, 0x3e928af3
	v_fma_f64 v[21:22], v[19:20], s[8:9], s[2:3]
	s_mov_b32 s2, 0x623fde64
	s_mov_b32 s3, 0x3ec71dee
	v_fma_f64 v[15:16], v[6:7], v[13:14], -v[15:16]
	v_fma_f64 v[21:22], v[19:20], v[21:22], s[2:3]
	s_mov_b32 s2, 0xd9cd616e
	s_mov_b32 s3, 0x3e8b8007
	v_add_f64 v[15:16], v[15:16], s[2:3]
	s_mov_b32 s2, 0x7c89e6b0
	s_mov_b32 s3, 0x3efa0199
	v_fma_f64 v[21:22], v[19:20], v[21:22], s[2:3]
	s_mov_b32 s2, 0x14761f6e
	s_mov_b32 s3, 0x3f2a01a0
	;; [unrolled: 10-line block ×5, first 2 shown]
	v_fma_f64 v[6:7], v[6:7], v[13:14], -v[15:16]
	v_fma_f64 v[13:14], v[29:30], v[25:26], v[27:28]
	v_fma_f64 v[21:22], v[19:20], v[21:22], 1.0
	v_add_f64 v[6:7], v[6:7], s[2:3]
	v_fma_f64 v[27:28], -v[13:14], v[13:14], v[23:24]
	v_fma_f64 v[17:18], v[19:20], v[21:22], 1.0
	v_add_f64 v[6:7], v[6:7], -v[15:16]
	v_fma_f64 v[13:14], v[27:28], v[25:26], v[13:14]
	v_ldexp_f64 v[15:16], v[17:18], v4
	v_cndmask_b32_e64 v4, 0, 0xffffff80, s0
	v_cmp_class_f64_e64 s0, v[23:24], 0x260
	v_mul_f64 v[6:7], v[6:7], 0.5
	v_ldexp_f64 v[11:12], v[13:14], v4
	v_cndmask_b32_e32 v14, 0x7ff00000, v16, vcc_lo
	v_cndmask_b32_e32 v13, 0, v15, vcc_lo
	v_mul_f64 v[6:7], v[13:14], v[6:7]
	v_cndmask_b32_e64 v12, v12, v24, s0
	v_cndmask_b32_e64 v11, v11, v23, s0
	v_div_scale_f64 v[13:14], null, v[11:12], v[11:12], v[6:7]
	v_rcp_f64_e32 v[15:16], v[13:14]
	v_fma_f64 v[17:18], -v[13:14], v[15:16], 1.0
	v_fma_f64 v[15:16], v[15:16], v[17:18], v[15:16]
	v_fma_f64 v[17:18], -v[13:14], v[15:16], 1.0
	v_fma_f64 v[15:16], v[15:16], v[17:18], v[15:16]
	v_div_scale_f64 v[17:18], vcc_lo, v[6:7], v[11:12], v[6:7]
	v_mul_f64 v[19:20], v[17:18], v[15:16]
	v_fma_f64 v[13:14], -v[13:14], v[19:20], v[17:18]
	v_div_fmas_f64 v[13:14], v[13:14], v[15:16], v[19:20]
	v_div_fixup_f64 v[6:7], v[13:14], v[11:12], v[6:7]
.LBB7_76:
	s_or_b32 exec_lo, exec_lo, s1
	global_load_dwordx2 v[11:12], v10, s[6:7]
                                        ; implicit-def: $vgpr9_vgpr10
	s_waitcnt vmcnt(0)
	v_cmp_ge_f64_e64 s0, 0x40200000, |v[11:12]|
	s_and_saveexec_b32 s1, s0
	s_xor_b32 s0, exec_lo, s1
	s_cbranch_execz .LBB7_78
; %bb.77:
	v_fma_f64 v[9:10], |v[11:12]|, 0.5, -2.0
	s_mov_b32 s2, 0x977da589
	s_mov_b32 s3, 0x3c833362
	;; [unrolled: 1-line block ×4, first 2 shown]
	v_fma_f64 v[13:14], v[9:10], s[8:9], s[2:3]
	s_mov_b32 s9, 0x3c545cb7
	s_mov_b32 s2, 0x721ebbb4
	;; [unrolled: 1-line block ×3, first 2 shown]
	v_fma_f64 v[15:16], v[9:10], v[13:14], s[8:9]
	s_mov_b32 s8, 0x3b39803f
	s_mov_b32 s9, 0xbc7abc9e
	v_add_f64 v[15:16], v[15:16], s[2:3]
	s_mov_b32 s2, 0x93f65eba
	s_mov_b32 s3, 0x3cdee6d8
	v_fma_f64 v[13:14], v[9:10], v[15:16], -v[13:14]
	v_add_f64 v[13:14], v[13:14], s[2:3]
	s_mov_b32 s2, 0xc297fbeb
	s_mov_b32 s3, 0xbd0a5022
	v_fma_f64 v[15:16], v[9:10], v[13:14], -v[15:16]
	;; [unrolled: 4-line block ×20, first 2 shown]
	v_add_f64 v[15:16], v[15:16], s[2:3]
	s_mov_b32 s2, 0x652b82fe
	s_mov_b32 s3, 0x3ff71547
	v_mul_f64 v[17:18], |v[11:12]|, s[2:3]
	s_mov_b32 s2, 0xf3dde3dd
	s_mov_b32 s3, 0x3f859961
	v_fma_f64 v[13:14], v[9:10], v[15:16], -v[13:14]
	v_rndne_f64_e32 v[17:18], v[17:18]
	v_add_f64 v[13:14], v[13:14], s[2:3]
	s_mov_b32 s2, 0xfefa39ef
	s_mov_b32 s3, 0xbfe62e42
	v_fma_f64 v[11:12], v[17:18], s[2:3], |v[11:12]|
	s_mov_b32 s2, 0xf121b6f0
	s_mov_b32 s3, 0xbf984e9e
	v_cvt_i32_f64_e32 v4, v[17:18]
	v_fma_f64 v[15:16], v[9:10], v[13:14], -v[15:16]
	v_fma_f64 v[11:12], v[17:18], s[8:9], v[11:12]
	s_mov_b32 s8, 0x6a5dcb37
	s_mov_b32 s9, 0x3e5ade15
	v_add_f64 v[15:16], v[15:16], s[2:3]
	s_mov_b32 s2, 0xfca7ab0c
	s_mov_b32 s3, 0x3e928af3
	v_fma_f64 v[19:20], v[11:12], s[8:9], s[2:3]
	s_mov_b32 s2, 0xcea8a32d
	s_mov_b32 s8, 0x623fde64
	s_mov_b32 s3, 0x3fa93e8a
	s_mov_b32 s9, 0x3ec71dee
	v_fma_f64 v[13:14], v[9:10], v[15:16], -v[13:14]
	v_fma_f64 v[19:20], v[11:12], v[19:20], s[8:9]
	s_mov_b32 s8, 0x14761f6e
	s_mov_b32 s9, 0x3f2a01a0
	v_add_f64 v[13:14], v[13:14], s[2:3]
	s_mov_b32 s2, 0x7c89e6b0
	s_mov_b32 s3, 0x3efa0199
	v_fma_f64 v[19:20], v[11:12], v[19:20], s[2:3]
	s_mov_b32 s2, 0x342d06ea
	s_mov_b32 s3, 0xbfb84b70
	v_fma_f64 v[15:16], v[9:10], v[13:14], -v[15:16]
	v_fma_f64 v[19:20], v[11:12], v[19:20], s[8:9]
	s_mov_b32 s8, 0x11122322
	s_mov_b32 s9, 0x3f811111
	v_add_f64 v[15:16], v[15:16], s[2:3]
	s_mov_b32 s2, 0x1852b7b0
	s_mov_b32 s3, 0x3f56c16c
	v_fma_f64 v[19:20], v[11:12], v[19:20], s[2:3]
	s_mov_b32 s2, 0x77ac88c0
	s_mov_b32 s3, 0x3fc5f7ac
	;; [unrolled: 10-line block ×3, first 2 shown]
	v_fma_f64 v[15:16], v[9:10], v[13:14], -v[15:16]
	v_fma_f64 v[19:20], v[11:12], v[19:20], s[8:9]
	v_add_f64 v[15:16], v[15:16], s[2:3]
	s_mov_b32 s2, 11
	s_mov_b32 s3, 0x3fe00000
	v_fma_f64 v[19:20], v[11:12], v[19:20], s[2:3]
	s_mov_b32 s2, 0x9035a22a
	s_mov_b32 s3, 0x3fe5a84e
	v_fma_f64 v[9:10], v[9:10], v[15:16], -v[13:14]
	v_fma_f64 v[15:16], v[11:12], v[19:20], 1.0
	v_add_f64 v[9:10], v[9:10], s[2:3]
	v_fma_f64 v[11:12], v[11:12], v[15:16], 1.0
	v_add_f64 v[9:10], v[9:10], -v[13:14]
	v_ldexp_f64 v[11:12], v[11:12], v4
	v_mul_f64 v[9:10], v[9:10], 0.5
	v_mul_f64 v[9:10], v[11:12], v[9:10]
                                        ; implicit-def: $vgpr11_vgpr12
.LBB7_78:
	s_andn2_saveexec_b32 s1, s0
	s_cbranch_execz .LBB7_80
; %bb.79:
	v_and_b32_e32 v10, 0x7fffffff, v12
	v_mov_b32_e32 v9, v11
	s_mov_b32 s2, 0x66119130
	s_mov_b32 s3, 0xbc5646da
	;; [unrolled: 1-line block ×4, first 2 shown]
	v_div_scale_f64 v[13:14], null, v[9:10], v[9:10], 0x40400000
	v_div_scale_f64 v[9:10], vcc_lo, 0x40400000, v[9:10], 0x40400000
	v_cmp_gt_f64_e64 s0, 0x10000000, |v[11:12]|
	v_rcp_f64_e32 v[15:16], v[13:14]
	v_cndmask_b32_e64 v4, 0, 0x100, s0
	v_ldexp_f64 v[23:24], |v[11:12]|, v4
	v_fma_f64 v[17:18], -v[13:14], v[15:16], 1.0
	v_rsq_f64_e32 v[25:26], v[23:24]
	v_fma_f64 v[15:16], v[15:16], v[17:18], v[15:16]
	v_mul_f64 v[27:28], v[23:24], v[25:26]
	v_mul_f64 v[25:26], v[25:26], 0.5
	v_fma_f64 v[17:18], -v[13:14], v[15:16], 1.0
	v_fma_f64 v[29:30], -v[25:26], v[27:28], 0.5
	v_fma_f64 v[15:16], v[15:16], v[17:18], v[15:16]
	v_fma_f64 v[27:28], v[27:28], v[29:30], v[27:28]
	;; [unrolled: 1-line block ×3, first 2 shown]
	v_mul_f64 v[17:18], v[9:10], v[15:16]
	v_fma_f64 v[29:30], -v[27:28], v[27:28], v[23:24]
	v_fma_f64 v[9:10], -v[13:14], v[17:18], v[9:10]
	v_div_fmas_f64 v[9:10], v[9:10], v[15:16], v[17:18]
	v_cmp_nlt_f64_e64 vcc_lo, 0x40900000, |v[11:12]|
	v_div_fixup_f64 v[9:10], v[9:10], |v[11:12]|, 0x40400000
	v_add_f64 v[9:10], v[9:10], -2.0
	v_fma_f64 v[13:14], v[9:10], s[8:9], s[2:3]
	s_mov_b32 s9, 0x3c60adb7
	s_mov_b32 s2, 0x12d98421
	;; [unrolled: 1-line block ×3, first 2 shown]
	v_fma_f64 v[15:16], v[9:10], v[13:14], s[8:9]
	s_mov_b32 s8, 0x6a5dcb37
	s_mov_b32 s9, 0x3e5ade15
	v_add_f64 v[15:16], v[15:16], s[2:3]
	s_mov_b32 s2, 0x76041cd
	s_mov_b32 s3, 0x3c83f3dd
	v_fma_f64 v[13:14], v[9:10], v[15:16], -v[13:14]
	v_add_f64 v[13:14], v[13:14], s[2:3]
	s_mov_b32 s2, 0xabd21fe4
	s_mov_b32 s3, 0xbcb4600b
	v_fma_f64 v[15:16], v[9:10], v[13:14], -v[15:16]
	;; [unrolled: 4-line block ×15, first 2 shown]
	v_add_f64 v[13:14], v[13:14], s[2:3]
	s_mov_b32 s2, 0x652b82fe
	s_mov_b32 s3, 0x3ff71547
	v_mul_f64 v[17:18], |v[11:12]|, s[2:3]
	s_mov_b32 s2, 0xa9225b87
	s_mov_b32 s3, 0x3e2d2c64
	v_fma_f64 v[15:16], v[9:10], v[13:14], -v[15:16]
	v_rndne_f64_e32 v[17:18], v[17:18]
	v_add_f64 v[15:16], v[15:16], s[2:3]
	s_mov_b32 s2, 0xfefa39ef
	s_mov_b32 s3, 0xbfe62e42
	v_fma_f64 v[19:20], v[17:18], s[2:3], |v[11:12]|
	s_mov_b32 s2, 0x3b39803f
	s_mov_b32 s3, 0xbc7abc9e
	v_cvt_i32_f64_e32 v4, v[17:18]
	v_fma_f64 v[13:14], v[9:10], v[15:16], -v[13:14]
	v_fma_f64 v[19:20], v[17:18], s[2:3], v[19:20]
	s_mov_b32 s2, 0x80d6d56d
	s_mov_b32 s3, 0x3e585692
	v_add_f64 v[13:14], v[13:14], s[2:3]
	s_mov_b32 s2, 0xfca7ab0c
	s_mov_b32 s3, 0x3e928af3
	v_fma_f64 v[21:22], v[19:20], s[8:9], s[2:3]
	s_mov_b32 s2, 0x623fde64
	s_mov_b32 s3, 0x3ec71dee
	v_fma_f64 v[15:16], v[9:10], v[13:14], -v[15:16]
	v_fma_f64 v[21:22], v[19:20], v[21:22], s[2:3]
	s_mov_b32 s2, 0xd9cd616e
	s_mov_b32 s3, 0x3e8b8007
	v_add_f64 v[15:16], v[15:16], s[2:3]
	s_mov_b32 s2, 0x7c89e6b0
	s_mov_b32 s3, 0x3efa0199
	v_fma_f64 v[21:22], v[19:20], v[21:22], s[2:3]
	s_mov_b32 s2, 0x14761f6e
	s_mov_b32 s3, 0x3f2a01a0
	;; [unrolled: 10-line block ×5, first 2 shown]
	v_fma_f64 v[9:10], v[9:10], v[13:14], -v[15:16]
	v_fma_f64 v[13:14], v[29:30], v[25:26], v[27:28]
	v_fma_f64 v[21:22], v[19:20], v[21:22], 1.0
	v_add_f64 v[9:10], v[9:10], s[2:3]
	v_fma_f64 v[27:28], -v[13:14], v[13:14], v[23:24]
	v_fma_f64 v[17:18], v[19:20], v[21:22], 1.0
	v_add_f64 v[9:10], v[9:10], -v[15:16]
	v_fma_f64 v[13:14], v[27:28], v[25:26], v[13:14]
	v_ldexp_f64 v[15:16], v[17:18], v4
	v_cndmask_b32_e64 v4, 0, 0xffffff80, s0
	v_cmp_class_f64_e64 s0, v[23:24], 0x260
	v_mul_f64 v[9:10], v[9:10], 0.5
	v_ldexp_f64 v[11:12], v[13:14], v4
	v_cndmask_b32_e32 v14, 0x7ff00000, v16, vcc_lo
	v_cndmask_b32_e32 v13, 0, v15, vcc_lo
	v_mul_f64 v[9:10], v[13:14], v[9:10]
	v_cndmask_b32_e64 v12, v12, v24, s0
	v_cndmask_b32_e64 v11, v11, v23, s0
	v_div_scale_f64 v[13:14], null, v[11:12], v[11:12], v[9:10]
	v_rcp_f64_e32 v[15:16], v[13:14]
	v_fma_f64 v[17:18], -v[13:14], v[15:16], 1.0
	v_fma_f64 v[15:16], v[15:16], v[17:18], v[15:16]
	v_fma_f64 v[17:18], -v[13:14], v[15:16], 1.0
	v_fma_f64 v[15:16], v[15:16], v[17:18], v[15:16]
	v_div_scale_f64 v[17:18], vcc_lo, v[9:10], v[11:12], v[9:10]
	v_mul_f64 v[19:20], v[17:18], v[15:16]
	v_fma_f64 v[13:14], -v[13:14], v[19:20], v[17:18]
	v_div_fmas_f64 v[13:14], v[13:14], v[15:16], v[19:20]
	v_div_fixup_f64 v[9:10], v[13:14], v[11:12], v[9:10]
.LBB7_80:
	s_or_b32 exec_lo, exec_lo, s1
	global_load_dwordx2 v[13:14], v8, s[6:7]
                                        ; implicit-def: $vgpr11_vgpr12
	s_waitcnt vmcnt(0)
	v_cmp_ge_f64_e64 s0, 0x40200000, |v[13:14]|
	s_and_saveexec_b32 s1, s0
	s_xor_b32 s0, exec_lo, s1
	s_cbranch_execz .LBB7_82
; %bb.81:
	v_fma_f64 v[11:12], |v[13:14]|, 0.5, -2.0
	s_mov_b32 s2, 0x977da589
	s_mov_b32 s3, 0x3c833362
	;; [unrolled: 1-line block ×4, first 2 shown]
	v_fma_f64 v[15:16], v[11:12], s[8:9], s[2:3]
	s_mov_b32 s9, 0x3c545cb7
	s_mov_b32 s2, 0x721ebbb4
	;; [unrolled: 1-line block ×3, first 2 shown]
	v_fma_f64 v[17:18], v[11:12], v[15:16], s[8:9]
	s_mov_b32 s8, 0x3b39803f
	s_mov_b32 s9, 0xbc7abc9e
	v_add_f64 v[17:18], v[17:18], s[2:3]
	s_mov_b32 s2, 0x93f65eba
	s_mov_b32 s3, 0x3cdee6d8
	v_fma_f64 v[15:16], v[11:12], v[17:18], -v[15:16]
	v_add_f64 v[15:16], v[15:16], s[2:3]
	s_mov_b32 s2, 0xc297fbeb
	s_mov_b32 s3, 0xbd0a5022
	v_fma_f64 v[17:18], v[11:12], v[15:16], -v[17:18]
	;; [unrolled: 4-line block ×20, first 2 shown]
	v_add_f64 v[17:18], v[17:18], s[2:3]
	s_mov_b32 s2, 0x652b82fe
	s_mov_b32 s3, 0x3ff71547
	v_mul_f64 v[19:20], |v[13:14]|, s[2:3]
	s_mov_b32 s2, 0xf3dde3dd
	s_mov_b32 s3, 0x3f859961
	v_fma_f64 v[15:16], v[11:12], v[17:18], -v[15:16]
	v_rndne_f64_e32 v[19:20], v[19:20]
	v_add_f64 v[15:16], v[15:16], s[2:3]
	s_mov_b32 s2, 0xfefa39ef
	s_mov_b32 s3, 0xbfe62e42
	v_fma_f64 v[13:14], v[19:20], s[2:3], |v[13:14]|
	s_mov_b32 s2, 0xf121b6f0
	s_mov_b32 s3, 0xbf984e9e
	v_cvt_i32_f64_e32 v4, v[19:20]
	v_fma_f64 v[17:18], v[11:12], v[15:16], -v[17:18]
	v_fma_f64 v[13:14], v[19:20], s[8:9], v[13:14]
	s_mov_b32 s8, 0x6a5dcb37
	s_mov_b32 s9, 0x3e5ade15
	v_add_f64 v[17:18], v[17:18], s[2:3]
	s_mov_b32 s2, 0xfca7ab0c
	s_mov_b32 s3, 0x3e928af3
	v_fma_f64 v[21:22], v[13:14], s[8:9], s[2:3]
	s_mov_b32 s2, 0xcea8a32d
	s_mov_b32 s8, 0x623fde64
	;; [unrolled: 1-line block ×4, first 2 shown]
	v_fma_f64 v[15:16], v[11:12], v[17:18], -v[15:16]
	v_fma_f64 v[21:22], v[13:14], v[21:22], s[8:9]
	s_mov_b32 s8, 0x14761f6e
	s_mov_b32 s9, 0x3f2a01a0
	v_add_f64 v[15:16], v[15:16], s[2:3]
	s_mov_b32 s2, 0x7c89e6b0
	s_mov_b32 s3, 0x3efa0199
	v_fma_f64 v[21:22], v[13:14], v[21:22], s[2:3]
	s_mov_b32 s2, 0x342d06ea
	s_mov_b32 s3, 0xbfb84b70
	v_fma_f64 v[17:18], v[11:12], v[15:16], -v[17:18]
	v_fma_f64 v[21:22], v[13:14], v[21:22], s[8:9]
	s_mov_b32 s8, 0x11122322
	s_mov_b32 s9, 0x3f811111
	v_add_f64 v[17:18], v[17:18], s[2:3]
	s_mov_b32 s2, 0x1852b7b0
	s_mov_b32 s3, 0x3f56c16c
	v_fma_f64 v[21:22], v[13:14], v[21:22], s[2:3]
	s_mov_b32 s2, 0x77ac88c0
	s_mov_b32 s3, 0x3fc5f7ac
	;; [unrolled: 10-line block ×3, first 2 shown]
	v_fma_f64 v[17:18], v[11:12], v[15:16], -v[17:18]
	v_fma_f64 v[21:22], v[13:14], v[21:22], s[8:9]
	v_add_f64 v[17:18], v[17:18], s[2:3]
	s_mov_b32 s2, 11
	s_mov_b32 s3, 0x3fe00000
	v_fma_f64 v[21:22], v[13:14], v[21:22], s[2:3]
	s_mov_b32 s2, 0x9035a22a
	s_mov_b32 s3, 0x3fe5a84e
	v_fma_f64 v[11:12], v[11:12], v[17:18], -v[15:16]
	v_fma_f64 v[17:18], v[13:14], v[21:22], 1.0
	v_add_f64 v[11:12], v[11:12], s[2:3]
	v_fma_f64 v[13:14], v[13:14], v[17:18], 1.0
	v_add_f64 v[11:12], v[11:12], -v[15:16]
	v_ldexp_f64 v[13:14], v[13:14], v4
	v_mul_f64 v[11:12], v[11:12], 0.5
	v_mul_f64 v[11:12], v[13:14], v[11:12]
                                        ; implicit-def: $vgpr13_vgpr14
.LBB7_82:
	s_andn2_saveexec_b32 s1, s0
	s_cbranch_execz .LBB7_84
; %bb.83:
	v_and_b32_e32 v12, 0x7fffffff, v14
	v_mov_b32_e32 v11, v13
	s_mov_b32 s2, 0x66119130
	s_mov_b32 s3, 0xbc5646da
	;; [unrolled: 1-line block ×4, first 2 shown]
	v_div_scale_f64 v[15:16], null, v[11:12], v[11:12], 0x40400000
	v_div_scale_f64 v[11:12], vcc_lo, 0x40400000, v[11:12], 0x40400000
	v_cmp_gt_f64_e64 s0, 0x10000000, |v[13:14]|
	v_rcp_f64_e32 v[17:18], v[15:16]
	v_cndmask_b32_e64 v4, 0, 0x100, s0
	v_ldexp_f64 v[25:26], |v[13:14]|, v4
	v_fma_f64 v[19:20], -v[15:16], v[17:18], 1.0
	v_rsq_f64_e32 v[27:28], v[25:26]
	v_fma_f64 v[17:18], v[17:18], v[19:20], v[17:18]
	v_mul_f64 v[29:30], v[25:26], v[27:28]
	v_mul_f64 v[27:28], v[27:28], 0.5
	v_fma_f64 v[19:20], -v[15:16], v[17:18], 1.0
	v_fma_f64 v[31:32], -v[27:28], v[29:30], 0.5
	v_fma_f64 v[17:18], v[17:18], v[19:20], v[17:18]
	v_fma_f64 v[29:30], v[29:30], v[31:32], v[29:30]
	;; [unrolled: 1-line block ×3, first 2 shown]
	v_mul_f64 v[19:20], v[11:12], v[17:18]
	v_fma_f64 v[31:32], -v[29:30], v[29:30], v[25:26]
	v_fma_f64 v[11:12], -v[15:16], v[19:20], v[11:12]
	v_div_fmas_f64 v[11:12], v[11:12], v[17:18], v[19:20]
	v_cmp_nlt_f64_e64 vcc_lo, 0x40900000, |v[13:14]|
	v_div_fixup_f64 v[11:12], v[11:12], |v[13:14]|, 0x40400000
	v_add_f64 v[11:12], v[11:12], -2.0
	v_fma_f64 v[15:16], v[11:12], s[8:9], s[2:3]
	s_mov_b32 s9, 0x3c60adb7
	s_mov_b32 s2, 0x12d98421
	;; [unrolled: 1-line block ×3, first 2 shown]
	v_fma_f64 v[17:18], v[11:12], v[15:16], s[8:9]
	s_mov_b32 s8, 0x6a5dcb37
	s_mov_b32 s9, 0x3e5ade15
	v_add_f64 v[17:18], v[17:18], s[2:3]
	s_mov_b32 s2, 0x76041cd
	s_mov_b32 s3, 0x3c83f3dd
	v_fma_f64 v[15:16], v[11:12], v[17:18], -v[15:16]
	v_add_f64 v[15:16], v[15:16], s[2:3]
	s_mov_b32 s2, 0xabd21fe4
	s_mov_b32 s3, 0xbcb4600b
	v_fma_f64 v[17:18], v[11:12], v[15:16], -v[17:18]
	;; [unrolled: 4-line block ×15, first 2 shown]
	v_add_f64 v[15:16], v[15:16], s[2:3]
	s_mov_b32 s2, 0x652b82fe
	s_mov_b32 s3, 0x3ff71547
	v_mul_f64 v[19:20], |v[13:14]|, s[2:3]
	s_mov_b32 s2, 0xa9225b87
	s_mov_b32 s3, 0x3e2d2c64
	v_fma_f64 v[17:18], v[11:12], v[15:16], -v[17:18]
	v_rndne_f64_e32 v[19:20], v[19:20]
	v_add_f64 v[17:18], v[17:18], s[2:3]
	s_mov_b32 s2, 0xfefa39ef
	s_mov_b32 s3, 0xbfe62e42
	v_fma_f64 v[21:22], v[19:20], s[2:3], |v[13:14]|
	s_mov_b32 s2, 0x3b39803f
	s_mov_b32 s3, 0xbc7abc9e
	v_cvt_i32_f64_e32 v4, v[19:20]
	v_fma_f64 v[15:16], v[11:12], v[17:18], -v[15:16]
	v_fma_f64 v[21:22], v[19:20], s[2:3], v[21:22]
	s_mov_b32 s2, 0x80d6d56d
	s_mov_b32 s3, 0x3e585692
	v_add_f64 v[15:16], v[15:16], s[2:3]
	s_mov_b32 s2, 0xfca7ab0c
	s_mov_b32 s3, 0x3e928af3
	v_fma_f64 v[23:24], v[21:22], s[8:9], s[2:3]
	s_mov_b32 s2, 0x623fde64
	s_mov_b32 s3, 0x3ec71dee
	v_fma_f64 v[17:18], v[11:12], v[15:16], -v[17:18]
	v_fma_f64 v[23:24], v[21:22], v[23:24], s[2:3]
	s_mov_b32 s2, 0xd9cd616e
	s_mov_b32 s3, 0x3e8b8007
	v_add_f64 v[17:18], v[17:18], s[2:3]
	s_mov_b32 s2, 0x7c89e6b0
	s_mov_b32 s3, 0x3efa0199
	v_fma_f64 v[23:24], v[21:22], v[23:24], s[2:3]
	s_mov_b32 s2, 0x14761f6e
	s_mov_b32 s3, 0x3f2a01a0
	;; [unrolled: 10-line block ×5, first 2 shown]
	v_fma_f64 v[11:12], v[11:12], v[15:16], -v[17:18]
	v_fma_f64 v[15:16], v[31:32], v[27:28], v[29:30]
	v_fma_f64 v[23:24], v[21:22], v[23:24], 1.0
	v_add_f64 v[11:12], v[11:12], s[2:3]
	v_fma_f64 v[29:30], -v[15:16], v[15:16], v[25:26]
	v_fma_f64 v[19:20], v[21:22], v[23:24], 1.0
	v_add_f64 v[11:12], v[11:12], -v[17:18]
	v_fma_f64 v[15:16], v[29:30], v[27:28], v[15:16]
	v_ldexp_f64 v[17:18], v[19:20], v4
	v_cndmask_b32_e64 v4, 0, 0xffffff80, s0
	v_cmp_class_f64_e64 s0, v[25:26], 0x260
	v_mul_f64 v[11:12], v[11:12], 0.5
	v_ldexp_f64 v[13:14], v[15:16], v4
	v_cndmask_b32_e32 v16, 0x7ff00000, v18, vcc_lo
	v_cndmask_b32_e32 v15, 0, v17, vcc_lo
	v_mul_f64 v[11:12], v[15:16], v[11:12]
	v_cndmask_b32_e64 v14, v14, v26, s0
	v_cndmask_b32_e64 v13, v13, v25, s0
	v_div_scale_f64 v[15:16], null, v[13:14], v[13:14], v[11:12]
	v_rcp_f64_e32 v[17:18], v[15:16]
	v_fma_f64 v[19:20], -v[15:16], v[17:18], 1.0
	v_fma_f64 v[17:18], v[17:18], v[19:20], v[17:18]
	v_fma_f64 v[19:20], -v[15:16], v[17:18], 1.0
	v_fma_f64 v[17:18], v[17:18], v[19:20], v[17:18]
	v_div_scale_f64 v[19:20], vcc_lo, v[11:12], v[13:14], v[11:12]
	v_mul_f64 v[21:22], v[19:20], v[17:18]
	v_fma_f64 v[15:16], -v[15:16], v[21:22], v[19:20]
	v_div_fmas_f64 v[15:16], v[15:16], v[17:18], v[21:22]
	v_div_fixup_f64 v[11:12], v[15:16], v[13:14], v[11:12]
.LBB7_84:
	s_or_b32 exec_lo, exec_lo, s1
	global_load_dwordx2 v[4:5], v5, s[6:7]
                                        ; implicit-def: $vgpr13_vgpr14
	s_waitcnt vmcnt(0)
	v_cmp_ge_f64_e64 s0, 0x40200000, |v[4:5]|
	s_and_saveexec_b32 s1, s0
	s_xor_b32 s0, exec_lo, s1
	s_cbranch_execz .LBB7_86
; %bb.85:
	v_fma_f64 v[13:14], |v[4:5]|, 0.5, -2.0
	s_mov_b32 s2, 0x977da589
	s_mov_b32 s3, 0x3c833362
	;; [unrolled: 1-line block ×4, first 2 shown]
	v_fma_f64 v[15:16], v[13:14], s[6:7], s[2:3]
	s_mov_b32 s7, 0x3c545cb7
	s_mov_b32 s2, 0x721ebbb4
	;; [unrolled: 1-line block ×3, first 2 shown]
	v_fma_f64 v[17:18], v[13:14], v[15:16], s[6:7]
	s_mov_b32 s6, 0x3b39803f
	s_mov_b32 s7, 0xbc7abc9e
	v_add_f64 v[17:18], v[17:18], s[2:3]
	s_mov_b32 s2, 0x93f65eba
	s_mov_b32 s3, 0x3cdee6d8
	v_fma_f64 v[15:16], v[13:14], v[17:18], -v[15:16]
	v_add_f64 v[15:16], v[15:16], s[2:3]
	s_mov_b32 s2, 0xc297fbeb
	s_mov_b32 s3, 0xbd0a5022
	v_fma_f64 v[17:18], v[13:14], v[15:16], -v[17:18]
	;; [unrolled: 4-line block ×20, first 2 shown]
	v_add_f64 v[17:18], v[17:18], s[2:3]
	s_mov_b32 s2, 0x652b82fe
	s_mov_b32 s3, 0x3ff71547
	v_mul_f64 v[19:20], |v[4:5]|, s[2:3]
	s_mov_b32 s2, 0xf3dde3dd
	s_mov_b32 s3, 0x3f859961
	v_fma_f64 v[15:16], v[13:14], v[17:18], -v[15:16]
	v_rndne_f64_e32 v[19:20], v[19:20]
	v_add_f64 v[15:16], v[15:16], s[2:3]
	s_mov_b32 s2, 0xfefa39ef
	s_mov_b32 s3, 0xbfe62e42
	v_fma_f64 v[4:5], v[19:20], s[2:3], |v[4:5]|
	s_mov_b32 s2, 0xf121b6f0
	s_mov_b32 s3, 0xbf984e9e
	v_cvt_i32_f64_e32 v8, v[19:20]
	v_fma_f64 v[17:18], v[13:14], v[15:16], -v[17:18]
	v_fma_f64 v[4:5], v[19:20], s[6:7], v[4:5]
	s_mov_b32 s6, 0x6a5dcb37
	s_mov_b32 s7, 0x3e5ade15
	v_add_f64 v[17:18], v[17:18], s[2:3]
	s_mov_b32 s2, 0xfca7ab0c
	s_mov_b32 s3, 0x3e928af3
	v_fma_f64 v[21:22], v[4:5], s[6:7], s[2:3]
	s_mov_b32 s2, 0xcea8a32d
	s_mov_b32 s6, 0x623fde64
	s_mov_b32 s3, 0x3fa93e8a
	s_mov_b32 s7, 0x3ec71dee
	v_fma_f64 v[15:16], v[13:14], v[17:18], -v[15:16]
	v_fma_f64 v[21:22], v[4:5], v[21:22], s[6:7]
	s_mov_b32 s6, 0x14761f6e
	s_mov_b32 s7, 0x3f2a01a0
	v_add_f64 v[15:16], v[15:16], s[2:3]
	s_mov_b32 s2, 0x7c89e6b0
	s_mov_b32 s3, 0x3efa0199
	v_fma_f64 v[21:22], v[4:5], v[21:22], s[2:3]
	s_mov_b32 s2, 0x342d06ea
	s_mov_b32 s3, 0xbfb84b70
	v_fma_f64 v[17:18], v[13:14], v[15:16], -v[17:18]
	v_fma_f64 v[21:22], v[4:5], v[21:22], s[6:7]
	s_mov_b32 s6, 0x11122322
	s_mov_b32 s7, 0x3f811111
	v_add_f64 v[17:18], v[17:18], s[2:3]
	s_mov_b32 s2, 0x1852b7b0
	s_mov_b32 s3, 0x3f56c16c
	v_fma_f64 v[21:22], v[4:5], v[21:22], s[2:3]
	s_mov_b32 s2, 0x77ac88c0
	s_mov_b32 s3, 0x3fc5f7ac
	v_fma_f64 v[15:16], v[13:14], v[17:18], -v[15:16]
	v_fma_f64 v[21:22], v[4:5], v[21:22], s[6:7]
	s_mov_b32 s6, 0x55555511
	s_mov_b32 s7, 0x3fc55555
	v_add_f64 v[15:16], v[15:16], s[2:3]
	s_mov_b32 s2, 0x555502a1
	s_mov_b32 s3, 0x3fa55555
	v_fma_f64 v[21:22], v[4:5], v[21:22], s[2:3]
	s_mov_b32 s2, 0xc057cd8d
	s_mov_b32 s3, 0xbfd37feb
	v_fma_f64 v[17:18], v[13:14], v[15:16], -v[17:18]
	v_fma_f64 v[21:22], v[4:5], v[21:22], s[6:7]
	v_add_f64 v[17:18], v[17:18], s[2:3]
	s_mov_b32 s2, 11
	s_mov_b32 s3, 0x3fe00000
	v_fma_f64 v[21:22], v[4:5], v[21:22], s[2:3]
	s_mov_b32 s2, 0x9035a22a
	s_mov_b32 s3, 0x3fe5a84e
	v_fma_f64 v[13:14], v[13:14], v[17:18], -v[15:16]
	v_fma_f64 v[17:18], v[4:5], v[21:22], 1.0
	v_add_f64 v[13:14], v[13:14], s[2:3]
	v_fma_f64 v[4:5], v[4:5], v[17:18], 1.0
	v_add_f64 v[13:14], v[13:14], -v[15:16]
	v_ldexp_f64 v[4:5], v[4:5], v8
	v_mul_f64 v[13:14], v[13:14], 0.5
	v_mul_f64 v[13:14], v[4:5], v[13:14]
                                        ; implicit-def: $vgpr4_vgpr5
.LBB7_86:
	s_andn2_saveexec_b32 s1, s0
	s_cbranch_execz .LBB7_88
; %bb.87:
	v_and_b32_e32 v14, 0x7fffffff, v5
	v_mov_b32_e32 v13, v4
	s_mov_b32 s2, 0x66119130
	s_mov_b32 s3, 0xbc5646da
	;; [unrolled: 1-line block ×4, first 2 shown]
	v_div_scale_f64 v[15:16], null, v[13:14], v[13:14], 0x40400000
	v_div_scale_f64 v[13:14], vcc_lo, 0x40400000, v[13:14], 0x40400000
	v_cmp_gt_f64_e64 s0, 0x10000000, |v[4:5]|
	v_rcp_f64_e32 v[17:18], v[15:16]
	v_cndmask_b32_e64 v8, 0, 0x100, s0
	v_ldexp_f64 v[25:26], |v[4:5]|, v8
	v_fma_f64 v[19:20], -v[15:16], v[17:18], 1.0
	v_rsq_f64_e32 v[27:28], v[25:26]
	v_fma_f64 v[17:18], v[17:18], v[19:20], v[17:18]
	v_mul_f64 v[29:30], v[25:26], v[27:28]
	v_mul_f64 v[27:28], v[27:28], 0.5
	v_fma_f64 v[19:20], -v[15:16], v[17:18], 1.0
	v_fma_f64 v[31:32], -v[27:28], v[29:30], 0.5
	v_fma_f64 v[17:18], v[17:18], v[19:20], v[17:18]
	v_fma_f64 v[29:30], v[29:30], v[31:32], v[29:30]
	;; [unrolled: 1-line block ×3, first 2 shown]
	v_mul_f64 v[19:20], v[13:14], v[17:18]
	v_fma_f64 v[31:32], -v[29:30], v[29:30], v[25:26]
	v_fma_f64 v[13:14], -v[15:16], v[19:20], v[13:14]
	v_div_fmas_f64 v[13:14], v[13:14], v[17:18], v[19:20]
	v_cmp_nlt_f64_e64 vcc_lo, 0x40900000, |v[4:5]|
	v_div_fixup_f64 v[13:14], v[13:14], |v[4:5]|, 0x40400000
	v_add_f64 v[13:14], v[13:14], -2.0
	v_fma_f64 v[15:16], v[13:14], s[6:7], s[2:3]
	s_mov_b32 s7, 0x3c60adb7
	s_mov_b32 s2, 0x12d98421
	;; [unrolled: 1-line block ×3, first 2 shown]
	v_fma_f64 v[17:18], v[13:14], v[15:16], s[6:7]
	s_mov_b32 s6, 0x6a5dcb37
	s_mov_b32 s7, 0x3e5ade15
	v_add_f64 v[17:18], v[17:18], s[2:3]
	s_mov_b32 s2, 0x76041cd
	s_mov_b32 s3, 0x3c83f3dd
	v_fma_f64 v[15:16], v[13:14], v[17:18], -v[15:16]
	v_add_f64 v[15:16], v[15:16], s[2:3]
	s_mov_b32 s2, 0xabd21fe4
	s_mov_b32 s3, 0xbcb4600b
	v_fma_f64 v[17:18], v[13:14], v[15:16], -v[17:18]
	;; [unrolled: 4-line block ×15, first 2 shown]
	v_add_f64 v[15:16], v[15:16], s[2:3]
	s_mov_b32 s2, 0x652b82fe
	s_mov_b32 s3, 0x3ff71547
	v_mul_f64 v[19:20], |v[4:5]|, s[2:3]
	s_mov_b32 s2, 0xa9225b87
	s_mov_b32 s3, 0x3e2d2c64
	v_fma_f64 v[17:18], v[13:14], v[15:16], -v[17:18]
	v_rndne_f64_e32 v[19:20], v[19:20]
	v_add_f64 v[17:18], v[17:18], s[2:3]
	s_mov_b32 s2, 0xfefa39ef
	s_mov_b32 s3, 0xbfe62e42
	v_fma_f64 v[21:22], v[19:20], s[2:3], |v[4:5]|
	s_mov_b32 s2, 0x3b39803f
	s_mov_b32 s3, 0xbc7abc9e
	v_cvt_i32_f64_e32 v8, v[19:20]
	v_fma_f64 v[15:16], v[13:14], v[17:18], -v[15:16]
	v_fma_f64 v[21:22], v[19:20], s[2:3], v[21:22]
	s_mov_b32 s2, 0x80d6d56d
	s_mov_b32 s3, 0x3e585692
	v_add_f64 v[15:16], v[15:16], s[2:3]
	s_mov_b32 s2, 0xfca7ab0c
	s_mov_b32 s3, 0x3e928af3
	v_fma_f64 v[23:24], v[21:22], s[6:7], s[2:3]
	s_mov_b32 s2, 0x623fde64
	s_mov_b32 s3, 0x3ec71dee
	v_fma_f64 v[17:18], v[13:14], v[15:16], -v[17:18]
	v_fma_f64 v[23:24], v[21:22], v[23:24], s[2:3]
	s_mov_b32 s2, 0xd9cd616e
	s_mov_b32 s3, 0x3e8b8007
	v_add_f64 v[17:18], v[17:18], s[2:3]
	s_mov_b32 s2, 0x7c89e6b0
	s_mov_b32 s3, 0x3efa0199
	v_fma_f64 v[23:24], v[21:22], v[23:24], s[2:3]
	s_mov_b32 s2, 0x14761f6e
	s_mov_b32 s3, 0x3f2a01a0
	;; [unrolled: 10-line block ×5, first 2 shown]
	v_fma_f64 v[13:14], v[13:14], v[15:16], -v[17:18]
	v_fma_f64 v[15:16], v[31:32], v[27:28], v[29:30]
	v_fma_f64 v[23:24], v[21:22], v[23:24], 1.0
	v_add_f64 v[13:14], v[13:14], s[2:3]
	v_fma_f64 v[29:30], -v[15:16], v[15:16], v[25:26]
	v_fma_f64 v[19:20], v[21:22], v[23:24], 1.0
	v_add_f64 v[13:14], v[13:14], -v[17:18]
	v_fma_f64 v[15:16], v[29:30], v[27:28], v[15:16]
	v_ldexp_f64 v[17:18], v[19:20], v8
	v_cndmask_b32_e64 v8, 0, 0xffffff80, s0
	v_cmp_class_f64_e64 s0, v[25:26], 0x260
	v_mul_f64 v[4:5], v[13:14], 0.5
	v_ldexp_f64 v[13:14], v[15:16], v8
	v_cndmask_b32_e32 v16, 0x7ff00000, v18, vcc_lo
	v_cndmask_b32_e32 v15, 0, v17, vcc_lo
	v_mul_f64 v[4:5], v[15:16], v[4:5]
	v_cndmask_b32_e64 v14, v14, v26, s0
	v_cndmask_b32_e64 v13, v13, v25, s0
	v_div_scale_f64 v[15:16], null, v[13:14], v[13:14], v[4:5]
	v_rcp_f64_e32 v[17:18], v[15:16]
	v_fma_f64 v[19:20], -v[15:16], v[17:18], 1.0
	v_fma_f64 v[17:18], v[17:18], v[19:20], v[17:18]
	v_fma_f64 v[19:20], -v[15:16], v[17:18], 1.0
	v_fma_f64 v[17:18], v[17:18], v[19:20], v[17:18]
	v_div_scale_f64 v[19:20], vcc_lo, v[4:5], v[13:14], v[4:5]
	v_mul_f64 v[21:22], v[19:20], v[17:18]
	v_fma_f64 v[15:16], -v[15:16], v[21:22], v[19:20]
	v_div_fmas_f64 v[15:16], v[15:16], v[17:18], v[21:22]
	v_div_fixup_f64 v[13:14], v[15:16], v[13:14], v[4:5]
.LBB7_88:
	s_or_b32 exec_lo, exec_lo, s1
	global_store_dwordx2 v0, v[6:7], s[4:5]
	global_store_dwordx2 v1, v[9:10], s[4:5]
	;; [unrolled: 1-line block ×4, first 2 shown]
	s_endpgm
.LBB7_89:
	v_mov_b32_e32 v0, 0
	v_mov_b32_e32 v2, 0
	s_branch .LBB7_95
.LBB7_90:
	v_mov_b32_e32 v0, 0
	v_mov_b32_e32 v2, 0
	s_branch .LBB7_115
.LBB7_91:
	v_mov_b32_e32 v0, 0
	v_mov_b32_e32 v2, 0
	;; [unrolled: 1-line block ×3, first 2 shown]
	s_mov_b32 s31, 0
.LBB7_92:
	s_and_b32 s33, s33, 3
	s_cmp_eq_u32 s33, 0
	s_cbranch_scc1 .LBB7_95
; %bb.93:
	s_lshl_b32 s0, s31, 3
	s_mul_i32 s20, s31, 12
	s_add_u32 s0, s2, s0
	s_addc_u32 s1, s3, 0
	s_add_u32 s0, s0, 0xc4
	s_addc_u32 s1, s1, 0
	;; [unrolled: 2-line block ×3, first 2 shown]
	.p2align	6
.LBB7_94:                               ; =>This Inner Loop Header: Depth=1
	s_clause 0x1
	s_load_dwordx2 s[34:35], s[20:21], 0x4
	s_load_dword s31, s[20:21], 0xc
	s_load_dwordx2 s[36:37], s[0:1], 0x0
	s_add_u32 s20, s20, 12
	s_addc_u32 s21, s21, 0
	s_add_u32 s0, s0, 8
	s_addc_u32 s1, s1, 0
	s_add_i32 s33, s33, -1
	s_cmp_lg_u32 s33, 0
	s_waitcnt lgkmcnt(0)
	v_mul_hi_u32 v3, s35, v1
	v_add_nc_u32_e32 v3, v1, v3
	v_lshrrev_b32_e32 v4, s31, v3
	v_mul_lo_u32 v3, v4, s34
	v_sub_nc_u32_e32 v3, v1, v3
	v_mad_u64_u32 v[0:1], null, v3, s36, v[0:1]
	v_mad_u64_u32 v[2:3], null, v3, s37, v[2:3]
	v_mov_b32_e32 v1, v4
	s_cbranch_scc1 .LBB7_94
.LBB7_95:
	s_cbranch_execnz .LBB7_98
.LBB7_96:
	s_waitcnt lgkmcnt(0)
	v_mul_hi_u32 v0, s13, v5
	s_andn2_b32 vcc_lo, exec_lo, s26
	v_add_nc_u32_e32 v0, v5, v0
	v_lshrrev_b32_e32 v1, s14, v0
	v_mul_lo_u32 v0, v1, s12
	v_sub_nc_u32_e32 v2, v5, v0
	v_mul_lo_u32 v0, v2, s8
	v_mul_lo_u32 v2, v2, s9
	s_cbranch_vccnz .LBB7_98
; %bb.97:
	v_mul_hi_u32 v3, s16, v1
	v_add_nc_u32_e32 v3, v1, v3
	v_lshrrev_b32_e32 v3, s17, v3
	v_mul_lo_u32 v3, v3, s15
	v_sub_nc_u32_e32 v3, v1, v3
	v_mad_u64_u32 v[0:1], null, v3, s10, v[0:1]
	v_mad_u64_u32 v[2:3], null, v3, s11, v[2:3]
.LBB7_98:
	s_waitcnt lgkmcnt(0)
	global_load_dwordx2 v[1:2], v2, s[6:7]
                                        ; implicit-def: $vgpr3_vgpr4
	s_waitcnt vmcnt(0)
	v_cmp_ge_f64_e64 s0, 0x40200000, |v[1:2]|
	s_and_saveexec_b32 s1, s0
	s_xor_b32 s0, exec_lo, s1
	s_cbranch_execz .LBB7_100
; %bb.99:
	v_fma_f64 v[3:4], |v[1:2]|, 0.5, -2.0
	s_mov_b32 s20, 0x977da589
	s_mov_b32 s21, 0x3c833362
	;; [unrolled: 1-line block ×4, first 2 shown]
	v_fma_f64 v[6:7], v[3:4], s[34:35], s[20:21]
	s_mov_b32 s35, 0x3c545cb7
	s_mov_b32 s20, 0x721ebbb4
	;; [unrolled: 1-line block ×3, first 2 shown]
	v_fma_f64 v[8:9], v[3:4], v[6:7], s[34:35]
	s_mov_b32 s34, 0x3b39803f
	s_mov_b32 s35, 0xbc7abc9e
	v_add_f64 v[8:9], v[8:9], s[20:21]
	s_mov_b32 s20, 0x93f65eba
	s_mov_b32 s21, 0x3cdee6d8
	v_fma_f64 v[6:7], v[3:4], v[8:9], -v[6:7]
	v_add_f64 v[6:7], v[6:7], s[20:21]
	s_mov_b32 s20, 0xc297fbeb
	s_mov_b32 s21, 0xbd0a5022
	v_fma_f64 v[8:9], v[3:4], v[6:7], -v[8:9]
	;; [unrolled: 4-line block ×20, first 2 shown]
	v_add_f64 v[8:9], v[8:9], s[20:21]
	s_mov_b32 s20, 0x652b82fe
	s_mov_b32 s21, 0x3ff71547
	v_mul_f64 v[10:11], |v[1:2]|, s[20:21]
	s_mov_b32 s20, 0xf3dde3dd
	s_mov_b32 s21, 0x3f859961
	v_fma_f64 v[6:7], v[3:4], v[8:9], -v[6:7]
	v_rndne_f64_e32 v[10:11], v[10:11]
	v_add_f64 v[6:7], v[6:7], s[20:21]
	s_mov_b32 s20, 0xfefa39ef
	s_mov_b32 s21, 0xbfe62e42
	v_fma_f64 v[1:2], v[10:11], s[20:21], |v[1:2]|
	s_mov_b32 s20, 0xf121b6f0
	s_mov_b32 s21, 0xbf984e9e
	v_fma_f64 v[8:9], v[3:4], v[6:7], -v[8:9]
	v_fma_f64 v[1:2], v[10:11], s[34:35], v[1:2]
	s_mov_b32 s34, 0x6a5dcb37
	s_mov_b32 s35, 0x3e5ade15
	v_add_f64 v[8:9], v[8:9], s[20:21]
	s_mov_b32 s20, 0xfca7ab0c
	s_mov_b32 s21, 0x3e928af3
	v_fma_f64 v[12:13], v[1:2], s[34:35], s[20:21]
	s_mov_b32 s20, 0xcea8a32d
	s_mov_b32 s34, 0x623fde64
	s_mov_b32 s21, 0x3fa93e8a
	s_mov_b32 s35, 0x3ec71dee
	v_fma_f64 v[6:7], v[3:4], v[8:9], -v[6:7]
	v_fma_f64 v[12:13], v[1:2], v[12:13], s[34:35]
	s_mov_b32 s34, 0x14761f6e
	s_mov_b32 s35, 0x3f2a01a0
	v_add_f64 v[6:7], v[6:7], s[20:21]
	s_mov_b32 s20, 0x7c89e6b0
	s_mov_b32 s21, 0x3efa0199
	v_fma_f64 v[12:13], v[1:2], v[12:13], s[20:21]
	s_mov_b32 s20, 0x342d06ea
	s_mov_b32 s21, 0xbfb84b70
	v_fma_f64 v[8:9], v[3:4], v[6:7], -v[8:9]
	v_fma_f64 v[12:13], v[1:2], v[12:13], s[34:35]
	s_mov_b32 s34, 0x11122322
	s_mov_b32 s35, 0x3f811111
	v_add_f64 v[8:9], v[8:9], s[20:21]
	s_mov_b32 s20, 0x1852b7b0
	s_mov_b32 s21, 0x3f56c16c
	v_fma_f64 v[12:13], v[1:2], v[12:13], s[20:21]
	s_mov_b32 s20, 0x77ac88c0
	s_mov_b32 s21, 0x3fc5f7ac
	;; [unrolled: 10-line block ×3, first 2 shown]
	v_fma_f64 v[8:9], v[3:4], v[6:7], -v[8:9]
	v_fma_f64 v[12:13], v[1:2], v[12:13], s[34:35]
	v_add_f64 v[8:9], v[8:9], s[20:21]
	s_mov_b32 s20, 11
	s_mov_b32 s21, 0x3fe00000
	v_fma_f64 v[12:13], v[1:2], v[12:13], s[20:21]
	s_mov_b32 s20, 0x9035a22a
	s_mov_b32 s21, 0x3fe5a84e
	v_fma_f64 v[3:4], v[3:4], v[8:9], -v[6:7]
	v_fma_f64 v[8:9], v[1:2], v[12:13], 1.0
	v_add_f64 v[3:4], v[3:4], s[20:21]
	v_fma_f64 v[1:2], v[1:2], v[8:9], 1.0
	v_cvt_i32_f64_e32 v8, v[10:11]
	v_add_f64 v[3:4], v[3:4], -v[6:7]
	v_ldexp_f64 v[1:2], v[1:2], v8
	v_mul_f64 v[3:4], v[3:4], 0.5
	v_mul_f64 v[3:4], v[1:2], v[3:4]
                                        ; implicit-def: $vgpr1_vgpr2
.LBB7_100:
	s_andn2_saveexec_b32 s1, s0
	s_cbranch_execz .LBB7_102
; %bb.101:
	v_and_b32_e32 v4, 0x7fffffff, v2
	v_mov_b32_e32 v3, v1
	s_mov_b32 s20, 0x66119130
	s_mov_b32 s21, 0xbc5646da
	;; [unrolled: 1-line block ×4, first 2 shown]
	v_div_scale_f64 v[6:7], null, v[3:4], v[3:4], 0x40400000
	v_div_scale_f64 v[3:4], vcc_lo, 0x40400000, v[3:4], 0x40400000
	v_cmp_gt_f64_e64 s0, 0x10000000, |v[1:2]|
	v_rcp_f64_e32 v[8:9], v[6:7]
	v_cndmask_b32_e64 v16, 0, 0x100, s0
	v_ldexp_f64 v[16:17], |v[1:2]|, v16
	v_fma_f64 v[10:11], -v[6:7], v[8:9], 1.0
	v_rsq_f64_e32 v[18:19], v[16:17]
	v_fma_f64 v[8:9], v[8:9], v[10:11], v[8:9]
	v_mul_f64 v[20:21], v[16:17], v[18:19]
	v_mul_f64 v[18:19], v[18:19], 0.5
	v_fma_f64 v[10:11], -v[6:7], v[8:9], 1.0
	v_fma_f64 v[22:23], -v[18:19], v[20:21], 0.5
	v_fma_f64 v[8:9], v[8:9], v[10:11], v[8:9]
	v_fma_f64 v[20:21], v[20:21], v[22:23], v[20:21]
	;; [unrolled: 1-line block ×3, first 2 shown]
	v_mul_f64 v[10:11], v[3:4], v[8:9]
	v_fma_f64 v[22:23], -v[20:21], v[20:21], v[16:17]
	v_fma_f64 v[3:4], -v[6:7], v[10:11], v[3:4]
	v_div_fmas_f64 v[3:4], v[3:4], v[8:9], v[10:11]
	v_cmp_nlt_f64_e64 vcc_lo, 0x40900000, |v[1:2]|
	v_div_fixup_f64 v[3:4], v[3:4], |v[1:2]|, 0x40400000
	v_add_f64 v[3:4], v[3:4], -2.0
	v_fma_f64 v[6:7], v[3:4], s[34:35], s[20:21]
	s_mov_b32 s35, 0x3c60adb7
	s_mov_b32 s20, 0x12d98421
	;; [unrolled: 1-line block ×3, first 2 shown]
	v_fma_f64 v[8:9], v[3:4], v[6:7], s[34:35]
	s_mov_b32 s34, 0x6a5dcb37
	s_mov_b32 s35, 0x3e5ade15
	v_add_f64 v[8:9], v[8:9], s[20:21]
	s_mov_b32 s20, 0x76041cd
	s_mov_b32 s21, 0x3c83f3dd
	v_fma_f64 v[6:7], v[3:4], v[8:9], -v[6:7]
	v_add_f64 v[6:7], v[6:7], s[20:21]
	s_mov_b32 s20, 0xabd21fe4
	s_mov_b32 s21, 0xbcb4600b
	v_fma_f64 v[8:9], v[3:4], v[6:7], -v[8:9]
	v_add_f64 v[8:9], v[8:9], s[20:21]
	s_mov_b32 s20, 0xd908de38
	s_mov_b32 s21, 0xbcb8aee7
	v_fma_f64 v[6:7], v[3:4], v[8:9], -v[6:7]
	v_add_f64 v[6:7], v[6:7], s[20:21]
	s_mov_b32 s20, 0xa3eafb1f
	s_mov_b32 s21, 0x3cdfee7d
	v_fma_f64 v[8:9], v[3:4], v[6:7], -v[8:9]
	v_add_f64 v[8:9], v[8:9], s[20:21]
	s_mov_b32 s20, 0x9094e6d7
	s_mov_b32 s21, 0x3cf12a91
	v_fma_f64 v[6:7], v[3:4], v[8:9], -v[6:7]
	v_add_f64 v[6:7], v[6:7], s[20:21]
	s_mov_b32 s20, 0x7e65629a
	s_mov_b32 s21, 0xbd0583fe
	v_fma_f64 v[8:9], v[3:4], v[6:7], -v[8:9]
	v_add_f64 v[8:9], v[8:9], s[20:21]
	s_mov_b32 s20, 0xcf68bb32
	s_mov_b32 s21, 0xbd275d99
	v_fma_f64 v[6:7], v[3:4], v[8:9], -v[6:7]
	v_add_f64 v[6:7], v[6:7], s[20:21]
	s_mov_b32 s20, 0xd5fc545
	s_mov_b32 s21, 0x3d1156ff
	v_fma_f64 v[8:9], v[3:4], v[6:7], -v[8:9]
	v_add_f64 v[8:9], v[8:9], s[20:21]
	s_mov_b32 s20, 0x6b83c073
	s_mov_b32 s21, 0x3d5b1c8c
	v_fma_f64 v[6:7], v[3:4], v[8:9], -v[6:7]
	v_add_f64 v[6:7], v[6:7], s[20:21]
	s_mov_b32 s20, 0xfa268cec
	s_mov_b32 s21, 0x3d694347
	v_fma_f64 v[8:9], v[3:4], v[6:7], -v[8:9]
	v_add_f64 v[8:9], v[8:9], s[20:21]
	s_mov_b32 s20, 0x3178d66
	s_mov_b32 s21, 0xbd7f9043
	v_fma_f64 v[6:7], v[3:4], v[8:9], -v[6:7]
	v_add_f64 v[6:7], v[6:7], s[20:21]
	s_mov_b32 s20, 0x357e7bf2
	s_mov_b32 s21, 0xbdad0fd7
	v_fma_f64 v[8:9], v[3:4], v[6:7], -v[8:9]
	v_add_f64 v[8:9], v[8:9], s[20:21]
	s_mov_b32 s20, 0x8397425
	s_mov_b32 s21, 0xbdc1511d
	v_fma_f64 v[6:7], v[3:4], v[8:9], -v[6:7]
	v_add_f64 v[6:7], v[6:7], s[20:21]
	s_mov_b32 s20, 0xabe8004f
	s_mov_b32 s21, 0x3daa24fe
	v_fma_f64 v[8:9], v[3:4], v[6:7], -v[8:9]
	v_add_f64 v[8:9], v[8:9], s[20:21]
	s_mov_b32 s20, 0xc0f46f75
	s_mov_b32 s21, 0x3e00f9cc
	v_fma_f64 v[6:7], v[3:4], v[8:9], -v[6:7]
	v_add_f64 v[6:7], v[6:7], s[20:21]
	s_mov_b32 s20, 0x652b82fe
	s_mov_b32 s21, 0x3ff71547
	v_mul_f64 v[10:11], |v[1:2]|, s[20:21]
	s_mov_b32 s20, 0xa9225b87
	s_mov_b32 s21, 0x3e2d2c64
	v_fma_f64 v[8:9], v[3:4], v[6:7], -v[8:9]
	v_rndne_f64_e32 v[10:11], v[10:11]
	v_add_f64 v[8:9], v[8:9], s[20:21]
	s_mov_b32 s20, 0xfefa39ef
	s_mov_b32 s21, 0xbfe62e42
	v_fma_f64 v[12:13], v[10:11], s[20:21], |v[1:2]|
	s_mov_b32 s20, 0x3b39803f
	s_mov_b32 s21, 0xbc7abc9e
	v_fma_f64 v[6:7], v[3:4], v[8:9], -v[6:7]
	v_fma_f64 v[12:13], v[10:11], s[20:21], v[12:13]
	s_mov_b32 s20, 0x80d6d56d
	s_mov_b32 s21, 0x3e585692
	v_add_f64 v[6:7], v[6:7], s[20:21]
	s_mov_b32 s20, 0xfca7ab0c
	s_mov_b32 s21, 0x3e928af3
	v_fma_f64 v[14:15], v[12:13], s[34:35], s[20:21]
	s_mov_b32 s20, 0x623fde64
	s_mov_b32 s21, 0x3ec71dee
	v_fma_f64 v[8:9], v[3:4], v[6:7], -v[8:9]
	v_fma_f64 v[14:15], v[12:13], v[14:15], s[20:21]
	s_mov_b32 s20, 0xd9cd616e
	s_mov_b32 s21, 0x3e8b8007
	v_add_f64 v[8:9], v[8:9], s[20:21]
	s_mov_b32 s20, 0x7c89e6b0
	s_mov_b32 s21, 0x3efa0199
	v_fma_f64 v[14:15], v[12:13], v[14:15], s[20:21]
	;; [unrolled: 10-line block ×5, first 2 shown]
	s_mov_b32 s20, 0xaca809cb
	s_mov_b32 s21, 0x3fe9be62
	v_fma_f64 v[3:4], v[3:4], v[6:7], -v[8:9]
	v_fma_f64 v[6:7], v[22:23], v[18:19], v[20:21]
	v_cvt_i32_f64_e32 v22, v[10:11]
	v_fma_f64 v[14:15], v[12:13], v[14:15], 1.0
	v_add_f64 v[3:4], v[3:4], s[20:21]
	v_fma_f64 v[20:21], -v[6:7], v[6:7], v[16:17]
	v_fma_f64 v[10:11], v[12:13], v[14:15], 1.0
	v_add_f64 v[3:4], v[3:4], -v[8:9]
	v_fma_f64 v[6:7], v[20:21], v[18:19], v[6:7]
	v_ldexp_f64 v[8:9], v[10:11], v22
	v_mul_f64 v[1:2], v[3:4], 0.5
	v_cndmask_b32_e64 v3, 0, 0xffffff80, s0
	v_cmp_class_f64_e64 s0, v[16:17], 0x260
	v_ldexp_f64 v[3:4], v[6:7], v3
	v_cndmask_b32_e32 v7, 0x7ff00000, v9, vcc_lo
	v_cndmask_b32_e32 v6, 0, v8, vcc_lo
	v_mul_f64 v[1:2], v[6:7], v[1:2]
	v_cndmask_b32_e64 v4, v4, v17, s0
	v_cndmask_b32_e64 v3, v3, v16, s0
	v_div_scale_f64 v[6:7], null, v[3:4], v[3:4], v[1:2]
	v_rcp_f64_e32 v[8:9], v[6:7]
	v_fma_f64 v[10:11], -v[6:7], v[8:9], 1.0
	v_fma_f64 v[8:9], v[8:9], v[10:11], v[8:9]
	v_fma_f64 v[10:11], -v[6:7], v[8:9], 1.0
	v_fma_f64 v[8:9], v[8:9], v[10:11], v[8:9]
	v_div_scale_f64 v[10:11], vcc_lo, v[1:2], v[3:4], v[1:2]
	v_mul_f64 v[12:13], v[10:11], v[8:9]
	v_fma_f64 v[6:7], -v[6:7], v[12:13], v[10:11]
	v_div_fmas_f64 v[6:7], v[6:7], v[8:9], v[12:13]
	v_div_fixup_f64 v[3:4], v[6:7], v[3:4], v[1:2]
.LBB7_102:
	s_or_b32 exec_lo, exec_lo, s1
	v_add_nc_u32_e32 v5, 0x80, v5
	global_store_dwordx2 v0, v[3:4], s[4:5]
	s_or_b32 exec_lo, exec_lo, s30
	s_mov_b32 s30, exec_lo
	v_cmpx_gt_i32_e64 s27, v5
	s_cbranch_execnz .LBB7_15
.LBB7_103:
	s_or_b32 exec_lo, exec_lo, s30
	s_mov_b32 s30, exec_lo
	v_cmpx_gt_i32_e64 s27, v5
	s_cbranch_execz .LBB7_123
.LBB7_104:
	s_andn2_b32 vcc_lo, exec_lo, s24
	s_cbranch_vccnz .LBB7_109
; %bb.105:
	s_andn2_b32 vcc_lo, exec_lo, s29
	s_cbranch_vccnz .LBB7_110
; %bb.106:
	s_add_i32 s33, s28, 1
	s_cmp_eq_u32 s23, 2
	s_cbranch_scc1 .LBB7_126
; %bb.107:
	v_mov_b32_e32 v2, 0
	v_mov_b32_e32 v0, 0
	;; [unrolled: 1-line block ×3, first 2 shown]
	s_and_b32 s31, s33, 28
	s_mov_b32 s34, 0
	s_mov_b64 s[0:1], s[2:3]
	s_mov_b64 s[20:21], s[18:19]
.LBB7_108:                              ; =>This Inner Loop Header: Depth=1
	s_clause 0x1
	s_load_dwordx8 s[36:43], s[0:1], 0x4
	s_load_dwordx4 s[52:55], s[0:1], 0x24
	s_load_dwordx8 s[44:51], s[20:21], 0x0
	s_add_u32 s0, s0, 48
	s_addc_u32 s1, s1, 0
	s_add_i32 s34, s34, 4
	s_add_u32 s20, s20, 32
	s_addc_u32 s21, s21, 0
	s_cmp_eq_u32 s31, s34
	s_waitcnt lgkmcnt(0)
	v_mul_hi_u32 v3, s37, v1
	v_add_nc_u32_e32 v3, v1, v3
	v_lshrrev_b32_e32 v3, s38, v3
	v_mul_hi_u32 v4, s40, v3
	v_mul_lo_u32 v7, v3, s36
	v_add_nc_u32_e32 v4, v3, v4
	v_sub_nc_u32_e32 v1, v1, v7
	v_lshrrev_b32_e32 v4, s41, v4
	v_mul_lo_u32 v7, v1, s44
	v_mul_lo_u32 v9, v1, s45
	v_mul_hi_u32 v6, s43, v4
	v_add_nc_u32_e32 v6, v4, v6
	v_lshrrev_b32_e32 v6, s52, v6
	v_mul_hi_u32 v8, s54, v6
	v_mul_lo_u32 v10, v6, s42
	v_add_nc_u32_e32 v1, v6, v8
	v_mul_lo_u32 v8, v4, s39
	v_sub_nc_u32_e32 v4, v4, v10
	v_lshrrev_b32_e32 v1, s55, v1
	v_mul_lo_u32 v10, v4, s48
	v_mul_lo_u32 v4, v4, s49
	v_sub_nc_u32_e32 v3, v3, v8
	v_mul_lo_u32 v11, v1, s53
	v_mul_lo_u32 v8, v3, s46
	;; [unrolled: 1-line block ×3, first 2 shown]
	v_sub_nc_u32_e32 v6, v6, v11
	v_add3_u32 v0, v7, v0, v8
	v_mul_lo_u32 v11, v6, s50
	v_mul_lo_u32 v6, v6, s51
	v_add3_u32 v2, v9, v2, v3
	v_add3_u32 v0, v10, v0, v11
	;; [unrolled: 1-line block ×3, first 2 shown]
	s_cbranch_scc0 .LBB7_108
	s_branch .LBB7_127
.LBB7_109:
                                        ; implicit-def: $vgpr0
                                        ; implicit-def: $vgpr2
	s_branch .LBB7_131
.LBB7_110:
	v_mov_b32_e32 v0, 0
	v_mov_b32_e32 v2, 0
	s_branch .LBB7_130
.LBB7_111:
	v_mov_b32_e32 v0, 0
	v_mov_b32_e32 v2, 0
	;; [unrolled: 1-line block ×3, first 2 shown]
	s_mov_b32 s31, 0
.LBB7_112:
	s_and_b32 s33, s33, 3
	s_cmp_eq_u32 s33, 0
	s_cbranch_scc1 .LBB7_115
; %bb.113:
	s_lshl_b32 s0, s31, 3
	s_mul_i32 s20, s31, 12
	s_add_u32 s0, s2, s0
	s_addc_u32 s1, s3, 0
	s_add_u32 s0, s0, 0xc4
	s_addc_u32 s1, s1, 0
	;; [unrolled: 2-line block ×3, first 2 shown]
	.p2align	6
.LBB7_114:                              ; =>This Inner Loop Header: Depth=1
	s_clause 0x1
	s_load_dwordx2 s[34:35], s[20:21], 0x4
	s_load_dword s31, s[20:21], 0xc
	s_load_dwordx2 s[36:37], s[0:1], 0x0
	s_add_u32 s20, s20, 12
	s_addc_u32 s21, s21, 0
	s_add_u32 s0, s0, 8
	s_addc_u32 s1, s1, 0
	s_add_i32 s33, s33, -1
	s_cmp_lg_u32 s33, 0
	s_waitcnt lgkmcnt(0)
	v_mul_hi_u32 v3, s35, v1
	v_add_nc_u32_e32 v3, v1, v3
	v_lshrrev_b32_e32 v4, s31, v3
	v_mul_lo_u32 v3, v4, s34
	v_sub_nc_u32_e32 v3, v1, v3
	v_mad_u64_u32 v[0:1], null, v3, s36, v[0:1]
	v_mad_u64_u32 v[2:3], null, v3, s37, v[2:3]
	v_mov_b32_e32 v1, v4
	s_cbranch_scc1 .LBB7_114
.LBB7_115:
	s_cbranch_execnz .LBB7_118
.LBB7_116:
	s_waitcnt lgkmcnt(0)
	v_mul_hi_u32 v0, s13, v5
	s_andn2_b32 vcc_lo, exec_lo, s26
	v_add_nc_u32_e32 v0, v5, v0
	v_lshrrev_b32_e32 v1, s14, v0
	v_mul_lo_u32 v0, v1, s12
	v_sub_nc_u32_e32 v2, v5, v0
	v_mul_lo_u32 v0, v2, s8
	v_mul_lo_u32 v2, v2, s9
	s_cbranch_vccnz .LBB7_118
; %bb.117:
	v_mul_hi_u32 v3, s16, v1
	v_add_nc_u32_e32 v3, v1, v3
	v_lshrrev_b32_e32 v3, s17, v3
	v_mul_lo_u32 v3, v3, s15
	v_sub_nc_u32_e32 v3, v1, v3
	v_mad_u64_u32 v[0:1], null, v3, s10, v[0:1]
	v_mad_u64_u32 v[2:3], null, v3, s11, v[2:3]
.LBB7_118:
	s_waitcnt lgkmcnt(0)
	global_load_dwordx2 v[1:2], v2, s[6:7]
                                        ; implicit-def: $vgpr3_vgpr4
	s_waitcnt vmcnt(0)
	v_cmp_ge_f64_e64 s0, 0x40200000, |v[1:2]|
	s_and_saveexec_b32 s1, s0
	s_xor_b32 s0, exec_lo, s1
	s_cbranch_execz .LBB7_120
; %bb.119:
	v_fma_f64 v[3:4], |v[1:2]|, 0.5, -2.0
	s_mov_b32 s20, 0x977da589
	s_mov_b32 s21, 0x3c833362
	;; [unrolled: 1-line block ×4, first 2 shown]
	v_fma_f64 v[6:7], v[3:4], s[34:35], s[20:21]
	s_mov_b32 s35, 0x3c545cb7
	s_mov_b32 s20, 0x721ebbb4
	;; [unrolled: 1-line block ×3, first 2 shown]
	v_fma_f64 v[8:9], v[3:4], v[6:7], s[34:35]
	s_mov_b32 s34, 0x3b39803f
	s_mov_b32 s35, 0xbc7abc9e
	v_add_f64 v[8:9], v[8:9], s[20:21]
	s_mov_b32 s20, 0x93f65eba
	s_mov_b32 s21, 0x3cdee6d8
	v_fma_f64 v[6:7], v[3:4], v[8:9], -v[6:7]
	v_add_f64 v[6:7], v[6:7], s[20:21]
	s_mov_b32 s20, 0xc297fbeb
	s_mov_b32 s21, 0xbd0a5022
	v_fma_f64 v[8:9], v[3:4], v[6:7], -v[8:9]
	;; [unrolled: 4-line block ×20, first 2 shown]
	v_add_f64 v[8:9], v[8:9], s[20:21]
	s_mov_b32 s20, 0x652b82fe
	s_mov_b32 s21, 0x3ff71547
	v_mul_f64 v[10:11], |v[1:2]|, s[20:21]
	s_mov_b32 s20, 0xf3dde3dd
	s_mov_b32 s21, 0x3f859961
	v_fma_f64 v[6:7], v[3:4], v[8:9], -v[6:7]
	v_rndne_f64_e32 v[10:11], v[10:11]
	v_add_f64 v[6:7], v[6:7], s[20:21]
	s_mov_b32 s20, 0xfefa39ef
	s_mov_b32 s21, 0xbfe62e42
	v_fma_f64 v[1:2], v[10:11], s[20:21], |v[1:2]|
	s_mov_b32 s20, 0xf121b6f0
	s_mov_b32 s21, 0xbf984e9e
	v_fma_f64 v[8:9], v[3:4], v[6:7], -v[8:9]
	v_fma_f64 v[1:2], v[10:11], s[34:35], v[1:2]
	s_mov_b32 s34, 0x6a5dcb37
	s_mov_b32 s35, 0x3e5ade15
	v_add_f64 v[8:9], v[8:9], s[20:21]
	s_mov_b32 s20, 0xfca7ab0c
	s_mov_b32 s21, 0x3e928af3
	v_fma_f64 v[12:13], v[1:2], s[34:35], s[20:21]
	s_mov_b32 s20, 0xcea8a32d
	s_mov_b32 s34, 0x623fde64
	;; [unrolled: 1-line block ×4, first 2 shown]
	v_fma_f64 v[6:7], v[3:4], v[8:9], -v[6:7]
	v_fma_f64 v[12:13], v[1:2], v[12:13], s[34:35]
	s_mov_b32 s34, 0x14761f6e
	s_mov_b32 s35, 0x3f2a01a0
	v_add_f64 v[6:7], v[6:7], s[20:21]
	s_mov_b32 s20, 0x7c89e6b0
	s_mov_b32 s21, 0x3efa0199
	v_fma_f64 v[12:13], v[1:2], v[12:13], s[20:21]
	s_mov_b32 s20, 0x342d06ea
	s_mov_b32 s21, 0xbfb84b70
	v_fma_f64 v[8:9], v[3:4], v[6:7], -v[8:9]
	v_fma_f64 v[12:13], v[1:2], v[12:13], s[34:35]
	s_mov_b32 s34, 0x11122322
	s_mov_b32 s35, 0x3f811111
	v_add_f64 v[8:9], v[8:9], s[20:21]
	s_mov_b32 s20, 0x1852b7b0
	s_mov_b32 s21, 0x3f56c16c
	v_fma_f64 v[12:13], v[1:2], v[12:13], s[20:21]
	s_mov_b32 s20, 0x77ac88c0
	s_mov_b32 s21, 0x3fc5f7ac
	;; [unrolled: 10-line block ×3, first 2 shown]
	v_fma_f64 v[8:9], v[3:4], v[6:7], -v[8:9]
	v_fma_f64 v[12:13], v[1:2], v[12:13], s[34:35]
	v_add_f64 v[8:9], v[8:9], s[20:21]
	s_mov_b32 s20, 11
	s_mov_b32 s21, 0x3fe00000
	v_fma_f64 v[12:13], v[1:2], v[12:13], s[20:21]
	s_mov_b32 s20, 0x9035a22a
	s_mov_b32 s21, 0x3fe5a84e
	v_fma_f64 v[3:4], v[3:4], v[8:9], -v[6:7]
	v_fma_f64 v[8:9], v[1:2], v[12:13], 1.0
	v_add_f64 v[3:4], v[3:4], s[20:21]
	v_fma_f64 v[1:2], v[1:2], v[8:9], 1.0
	v_cvt_i32_f64_e32 v8, v[10:11]
	v_add_f64 v[3:4], v[3:4], -v[6:7]
	v_ldexp_f64 v[1:2], v[1:2], v8
	v_mul_f64 v[3:4], v[3:4], 0.5
	v_mul_f64 v[3:4], v[1:2], v[3:4]
                                        ; implicit-def: $vgpr1_vgpr2
.LBB7_120:
	s_andn2_saveexec_b32 s1, s0
	s_cbranch_execz .LBB7_122
; %bb.121:
	v_and_b32_e32 v4, 0x7fffffff, v2
	v_mov_b32_e32 v3, v1
	s_mov_b32 s20, 0x66119130
	s_mov_b32 s21, 0xbc5646da
	;; [unrolled: 1-line block ×4, first 2 shown]
	v_div_scale_f64 v[6:7], null, v[3:4], v[3:4], 0x40400000
	v_div_scale_f64 v[3:4], vcc_lo, 0x40400000, v[3:4], 0x40400000
	v_cmp_gt_f64_e64 s0, 0x10000000, |v[1:2]|
	v_rcp_f64_e32 v[8:9], v[6:7]
	v_cndmask_b32_e64 v16, 0, 0x100, s0
	v_ldexp_f64 v[16:17], |v[1:2]|, v16
	v_fma_f64 v[10:11], -v[6:7], v[8:9], 1.0
	v_rsq_f64_e32 v[18:19], v[16:17]
	v_fma_f64 v[8:9], v[8:9], v[10:11], v[8:9]
	v_mul_f64 v[20:21], v[16:17], v[18:19]
	v_mul_f64 v[18:19], v[18:19], 0.5
	v_fma_f64 v[10:11], -v[6:7], v[8:9], 1.0
	v_fma_f64 v[22:23], -v[18:19], v[20:21], 0.5
	v_fma_f64 v[8:9], v[8:9], v[10:11], v[8:9]
	v_fma_f64 v[20:21], v[20:21], v[22:23], v[20:21]
	;; [unrolled: 1-line block ×3, first 2 shown]
	v_mul_f64 v[10:11], v[3:4], v[8:9]
	v_fma_f64 v[22:23], -v[20:21], v[20:21], v[16:17]
	v_fma_f64 v[3:4], -v[6:7], v[10:11], v[3:4]
	v_div_fmas_f64 v[3:4], v[3:4], v[8:9], v[10:11]
	v_cmp_nlt_f64_e64 vcc_lo, 0x40900000, |v[1:2]|
	v_div_fixup_f64 v[3:4], v[3:4], |v[1:2]|, 0x40400000
	v_add_f64 v[3:4], v[3:4], -2.0
	v_fma_f64 v[6:7], v[3:4], s[34:35], s[20:21]
	s_mov_b32 s35, 0x3c60adb7
	s_mov_b32 s20, 0x12d98421
	s_mov_b32 s21, 0x3c89be18
	v_fma_f64 v[8:9], v[3:4], v[6:7], s[34:35]
	s_mov_b32 s34, 0x6a5dcb37
	s_mov_b32 s35, 0x3e5ade15
	v_add_f64 v[8:9], v[8:9], s[20:21]
	s_mov_b32 s20, 0x76041cd
	s_mov_b32 s21, 0x3c83f3dd
	v_fma_f64 v[6:7], v[3:4], v[8:9], -v[6:7]
	v_add_f64 v[6:7], v[6:7], s[20:21]
	s_mov_b32 s20, 0xabd21fe4
	s_mov_b32 s21, 0xbcb4600b
	v_fma_f64 v[8:9], v[3:4], v[6:7], -v[8:9]
	;; [unrolled: 4-line block ×15, first 2 shown]
	v_add_f64 v[6:7], v[6:7], s[20:21]
	s_mov_b32 s20, 0x652b82fe
	s_mov_b32 s21, 0x3ff71547
	v_mul_f64 v[10:11], |v[1:2]|, s[20:21]
	s_mov_b32 s20, 0xa9225b87
	s_mov_b32 s21, 0x3e2d2c64
	v_fma_f64 v[8:9], v[3:4], v[6:7], -v[8:9]
	v_rndne_f64_e32 v[10:11], v[10:11]
	v_add_f64 v[8:9], v[8:9], s[20:21]
	s_mov_b32 s20, 0xfefa39ef
	s_mov_b32 s21, 0xbfe62e42
	v_fma_f64 v[12:13], v[10:11], s[20:21], |v[1:2]|
	s_mov_b32 s20, 0x3b39803f
	s_mov_b32 s21, 0xbc7abc9e
	v_fma_f64 v[6:7], v[3:4], v[8:9], -v[6:7]
	v_fma_f64 v[12:13], v[10:11], s[20:21], v[12:13]
	s_mov_b32 s20, 0x80d6d56d
	s_mov_b32 s21, 0x3e585692
	v_add_f64 v[6:7], v[6:7], s[20:21]
	s_mov_b32 s20, 0xfca7ab0c
	s_mov_b32 s21, 0x3e928af3
	v_fma_f64 v[14:15], v[12:13], s[34:35], s[20:21]
	s_mov_b32 s20, 0x623fde64
	s_mov_b32 s21, 0x3ec71dee
	v_fma_f64 v[8:9], v[3:4], v[6:7], -v[8:9]
	v_fma_f64 v[14:15], v[12:13], v[14:15], s[20:21]
	s_mov_b32 s20, 0xd9cd616e
	s_mov_b32 s21, 0x3e8b8007
	v_add_f64 v[8:9], v[8:9], s[20:21]
	s_mov_b32 s20, 0x7c89e6b0
	s_mov_b32 s21, 0x3efa0199
	v_fma_f64 v[14:15], v[12:13], v[14:15], s[20:21]
	;; [unrolled: 10-line block ×5, first 2 shown]
	s_mov_b32 s20, 0xaca809cb
	s_mov_b32 s21, 0x3fe9be62
	v_fma_f64 v[3:4], v[3:4], v[6:7], -v[8:9]
	v_fma_f64 v[6:7], v[22:23], v[18:19], v[20:21]
	v_cvt_i32_f64_e32 v22, v[10:11]
	v_fma_f64 v[14:15], v[12:13], v[14:15], 1.0
	v_add_f64 v[3:4], v[3:4], s[20:21]
	v_fma_f64 v[20:21], -v[6:7], v[6:7], v[16:17]
	v_fma_f64 v[10:11], v[12:13], v[14:15], 1.0
	v_add_f64 v[3:4], v[3:4], -v[8:9]
	v_fma_f64 v[6:7], v[20:21], v[18:19], v[6:7]
	v_ldexp_f64 v[8:9], v[10:11], v22
	v_mul_f64 v[1:2], v[3:4], 0.5
	v_cndmask_b32_e64 v3, 0, 0xffffff80, s0
	v_cmp_class_f64_e64 s0, v[16:17], 0x260
	v_ldexp_f64 v[3:4], v[6:7], v3
	v_cndmask_b32_e32 v7, 0x7ff00000, v9, vcc_lo
	v_cndmask_b32_e32 v6, 0, v8, vcc_lo
	v_mul_f64 v[1:2], v[6:7], v[1:2]
	v_cndmask_b32_e64 v4, v4, v17, s0
	v_cndmask_b32_e64 v3, v3, v16, s0
	v_div_scale_f64 v[6:7], null, v[3:4], v[3:4], v[1:2]
	v_rcp_f64_e32 v[8:9], v[6:7]
	v_fma_f64 v[10:11], -v[6:7], v[8:9], 1.0
	v_fma_f64 v[8:9], v[8:9], v[10:11], v[8:9]
	v_fma_f64 v[10:11], -v[6:7], v[8:9], 1.0
	v_fma_f64 v[8:9], v[8:9], v[10:11], v[8:9]
	v_div_scale_f64 v[10:11], vcc_lo, v[1:2], v[3:4], v[1:2]
	v_mul_f64 v[12:13], v[10:11], v[8:9]
	v_fma_f64 v[6:7], -v[6:7], v[12:13], v[10:11]
	v_div_fmas_f64 v[6:7], v[6:7], v[8:9], v[12:13]
	v_div_fixup_f64 v[3:4], v[6:7], v[3:4], v[1:2]
.LBB7_122:
	s_or_b32 exec_lo, exec_lo, s1
	v_add_nc_u32_e32 v5, 0x80, v5
	global_store_dwordx2 v0, v[3:4], s[4:5]
	s_or_b32 exec_lo, exec_lo, s30
	s_mov_b32 s30, exec_lo
	v_cmpx_gt_i32_e64 s27, v5
	s_cbranch_execnz .LBB7_104
.LBB7_123:
	s_or_b32 exec_lo, exec_lo, s30
	s_mov_b32 s20, exec_lo
	v_cmpx_gt_i32_e64 s27, v5
	s_cbranch_execnz .LBB7_138
.LBB7_124:
	s_or_b32 exec_lo, exec_lo, s20
                                        ; implicit-def: $vgpr12
                                        ; implicit-def: $vgpr5
	s_andn2_saveexec_b32 s0, s25
	s_cbranch_execnz .LBB7_8
.LBB7_125:
	s_endpgm
.LBB7_126:
	v_mov_b32_e32 v0, 0
	v_mov_b32_e32 v2, 0
	;; [unrolled: 1-line block ×3, first 2 shown]
	s_mov_b32 s31, 0
.LBB7_127:
	s_and_b32 s33, s33, 3
	s_cmp_eq_u32 s33, 0
	s_cbranch_scc1 .LBB7_130
; %bb.128:
	s_lshl_b32 s0, s31, 3
	s_mul_i32 s20, s31, 12
	s_add_u32 s0, s2, s0
	s_addc_u32 s1, s3, 0
	s_add_u32 s0, s0, 0xc4
	s_addc_u32 s1, s1, 0
	;; [unrolled: 2-line block ×3, first 2 shown]
	.p2align	6
.LBB7_129:                              ; =>This Inner Loop Header: Depth=1
	s_clause 0x1
	s_load_dwordx2 s[34:35], s[20:21], 0x4
	s_load_dword s31, s[20:21], 0xc
	s_load_dwordx2 s[36:37], s[0:1], 0x0
	s_add_u32 s20, s20, 12
	s_addc_u32 s21, s21, 0
	s_add_u32 s0, s0, 8
	s_addc_u32 s1, s1, 0
	s_add_i32 s33, s33, -1
	s_cmp_lg_u32 s33, 0
	s_waitcnt lgkmcnt(0)
	v_mul_hi_u32 v3, s35, v1
	v_add_nc_u32_e32 v3, v1, v3
	v_lshrrev_b32_e32 v4, s31, v3
	v_mul_lo_u32 v3, v4, s34
	v_sub_nc_u32_e32 v3, v1, v3
	v_mad_u64_u32 v[0:1], null, v3, s36, v[0:1]
	v_mad_u64_u32 v[2:3], null, v3, s37, v[2:3]
	v_mov_b32_e32 v1, v4
	s_cbranch_scc1 .LBB7_129
.LBB7_130:
	s_cbranch_execnz .LBB7_133
.LBB7_131:
	s_waitcnt lgkmcnt(0)
	v_mul_hi_u32 v0, s13, v5
	s_andn2_b32 vcc_lo, exec_lo, s26
	v_add_nc_u32_e32 v0, v5, v0
	v_lshrrev_b32_e32 v1, s14, v0
	v_mul_lo_u32 v0, v1, s12
	v_sub_nc_u32_e32 v2, v5, v0
	v_mul_lo_u32 v0, v2, s8
	v_mul_lo_u32 v2, v2, s9
	s_cbranch_vccnz .LBB7_133
; %bb.132:
	v_mul_hi_u32 v3, s16, v1
	v_add_nc_u32_e32 v3, v1, v3
	v_lshrrev_b32_e32 v3, s17, v3
	v_mul_lo_u32 v3, v3, s15
	v_sub_nc_u32_e32 v3, v1, v3
	v_mad_u64_u32 v[0:1], null, v3, s10, v[0:1]
	v_mad_u64_u32 v[2:3], null, v3, s11, v[2:3]
.LBB7_133:
	s_waitcnt lgkmcnt(0)
	global_load_dwordx2 v[1:2], v2, s[6:7]
                                        ; implicit-def: $vgpr3_vgpr4
	s_waitcnt vmcnt(0)
	v_cmp_ge_f64_e64 s0, 0x40200000, |v[1:2]|
	s_and_saveexec_b32 s1, s0
	s_xor_b32 s0, exec_lo, s1
	s_cbranch_execz .LBB7_135
; %bb.134:
	v_fma_f64 v[3:4], |v[1:2]|, 0.5, -2.0
	s_mov_b32 s20, 0x977da589
	s_mov_b32 s21, 0x3c833362
	;; [unrolled: 1-line block ×4, first 2 shown]
	v_fma_f64 v[6:7], v[3:4], s[34:35], s[20:21]
	s_mov_b32 s35, 0x3c545cb7
	s_mov_b32 s20, 0x721ebbb4
	;; [unrolled: 1-line block ×3, first 2 shown]
	v_fma_f64 v[8:9], v[3:4], v[6:7], s[34:35]
	s_mov_b32 s34, 0x3b39803f
	s_mov_b32 s35, 0xbc7abc9e
	v_add_f64 v[8:9], v[8:9], s[20:21]
	s_mov_b32 s20, 0x93f65eba
	s_mov_b32 s21, 0x3cdee6d8
	v_fma_f64 v[6:7], v[3:4], v[8:9], -v[6:7]
	v_add_f64 v[6:7], v[6:7], s[20:21]
	s_mov_b32 s20, 0xc297fbeb
	s_mov_b32 s21, 0xbd0a5022
	v_fma_f64 v[8:9], v[3:4], v[6:7], -v[8:9]
	;; [unrolled: 4-line block ×20, first 2 shown]
	v_add_f64 v[8:9], v[8:9], s[20:21]
	s_mov_b32 s20, 0x652b82fe
	s_mov_b32 s21, 0x3ff71547
	v_mul_f64 v[10:11], |v[1:2]|, s[20:21]
	s_mov_b32 s20, 0xf3dde3dd
	s_mov_b32 s21, 0x3f859961
	v_fma_f64 v[6:7], v[3:4], v[8:9], -v[6:7]
	v_rndne_f64_e32 v[10:11], v[10:11]
	v_add_f64 v[6:7], v[6:7], s[20:21]
	s_mov_b32 s20, 0xfefa39ef
	s_mov_b32 s21, 0xbfe62e42
	v_fma_f64 v[1:2], v[10:11], s[20:21], |v[1:2]|
	s_mov_b32 s20, 0xf121b6f0
	s_mov_b32 s21, 0xbf984e9e
	v_fma_f64 v[8:9], v[3:4], v[6:7], -v[8:9]
	v_fma_f64 v[1:2], v[10:11], s[34:35], v[1:2]
	s_mov_b32 s34, 0x6a5dcb37
	s_mov_b32 s35, 0x3e5ade15
	v_add_f64 v[8:9], v[8:9], s[20:21]
	s_mov_b32 s20, 0xfca7ab0c
	s_mov_b32 s21, 0x3e928af3
	v_fma_f64 v[12:13], v[1:2], s[34:35], s[20:21]
	s_mov_b32 s20, 0xcea8a32d
	s_mov_b32 s34, 0x623fde64
	;; [unrolled: 1-line block ×4, first 2 shown]
	v_fma_f64 v[6:7], v[3:4], v[8:9], -v[6:7]
	v_fma_f64 v[12:13], v[1:2], v[12:13], s[34:35]
	s_mov_b32 s34, 0x14761f6e
	s_mov_b32 s35, 0x3f2a01a0
	v_add_f64 v[6:7], v[6:7], s[20:21]
	s_mov_b32 s20, 0x7c89e6b0
	s_mov_b32 s21, 0x3efa0199
	v_fma_f64 v[12:13], v[1:2], v[12:13], s[20:21]
	s_mov_b32 s20, 0x342d06ea
	s_mov_b32 s21, 0xbfb84b70
	v_fma_f64 v[8:9], v[3:4], v[6:7], -v[8:9]
	v_fma_f64 v[12:13], v[1:2], v[12:13], s[34:35]
	s_mov_b32 s34, 0x11122322
	s_mov_b32 s35, 0x3f811111
	v_add_f64 v[8:9], v[8:9], s[20:21]
	s_mov_b32 s20, 0x1852b7b0
	s_mov_b32 s21, 0x3f56c16c
	v_fma_f64 v[12:13], v[1:2], v[12:13], s[20:21]
	s_mov_b32 s20, 0x77ac88c0
	s_mov_b32 s21, 0x3fc5f7ac
	;; [unrolled: 10-line block ×3, first 2 shown]
	v_fma_f64 v[8:9], v[3:4], v[6:7], -v[8:9]
	v_fma_f64 v[12:13], v[1:2], v[12:13], s[34:35]
	v_add_f64 v[8:9], v[8:9], s[20:21]
	s_mov_b32 s20, 11
	s_mov_b32 s21, 0x3fe00000
	v_fma_f64 v[12:13], v[1:2], v[12:13], s[20:21]
	s_mov_b32 s20, 0x9035a22a
	s_mov_b32 s21, 0x3fe5a84e
	v_fma_f64 v[3:4], v[3:4], v[8:9], -v[6:7]
	v_fma_f64 v[8:9], v[1:2], v[12:13], 1.0
	v_add_f64 v[3:4], v[3:4], s[20:21]
	v_fma_f64 v[1:2], v[1:2], v[8:9], 1.0
	v_cvt_i32_f64_e32 v8, v[10:11]
	v_add_f64 v[3:4], v[3:4], -v[6:7]
	v_ldexp_f64 v[1:2], v[1:2], v8
	v_mul_f64 v[3:4], v[3:4], 0.5
	v_mul_f64 v[3:4], v[1:2], v[3:4]
                                        ; implicit-def: $vgpr1_vgpr2
.LBB7_135:
	s_andn2_saveexec_b32 s1, s0
	s_cbranch_execz .LBB7_137
; %bb.136:
	v_and_b32_e32 v4, 0x7fffffff, v2
	v_mov_b32_e32 v3, v1
	s_mov_b32 s20, 0x66119130
	s_mov_b32 s21, 0xbc5646da
	;; [unrolled: 1-line block ×4, first 2 shown]
	v_div_scale_f64 v[6:7], null, v[3:4], v[3:4], 0x40400000
	v_div_scale_f64 v[3:4], vcc_lo, 0x40400000, v[3:4], 0x40400000
	v_cmp_gt_f64_e64 s0, 0x10000000, |v[1:2]|
	v_rcp_f64_e32 v[8:9], v[6:7]
	v_cndmask_b32_e64 v16, 0, 0x100, s0
	v_ldexp_f64 v[16:17], |v[1:2]|, v16
	v_fma_f64 v[10:11], -v[6:7], v[8:9], 1.0
	v_rsq_f64_e32 v[18:19], v[16:17]
	v_fma_f64 v[8:9], v[8:9], v[10:11], v[8:9]
	v_mul_f64 v[20:21], v[16:17], v[18:19]
	v_mul_f64 v[18:19], v[18:19], 0.5
	v_fma_f64 v[10:11], -v[6:7], v[8:9], 1.0
	v_fma_f64 v[22:23], -v[18:19], v[20:21], 0.5
	v_fma_f64 v[8:9], v[8:9], v[10:11], v[8:9]
	v_fma_f64 v[20:21], v[20:21], v[22:23], v[20:21]
	;; [unrolled: 1-line block ×3, first 2 shown]
	v_mul_f64 v[10:11], v[3:4], v[8:9]
	v_fma_f64 v[22:23], -v[20:21], v[20:21], v[16:17]
	v_fma_f64 v[3:4], -v[6:7], v[10:11], v[3:4]
	v_div_fmas_f64 v[3:4], v[3:4], v[8:9], v[10:11]
	v_cmp_nlt_f64_e64 vcc_lo, 0x40900000, |v[1:2]|
	v_div_fixup_f64 v[3:4], v[3:4], |v[1:2]|, 0x40400000
	v_add_f64 v[3:4], v[3:4], -2.0
	v_fma_f64 v[6:7], v[3:4], s[34:35], s[20:21]
	s_mov_b32 s35, 0x3c60adb7
	s_mov_b32 s20, 0x12d98421
	;; [unrolled: 1-line block ×3, first 2 shown]
	v_fma_f64 v[8:9], v[3:4], v[6:7], s[34:35]
	s_mov_b32 s34, 0x6a5dcb37
	s_mov_b32 s35, 0x3e5ade15
	v_add_f64 v[8:9], v[8:9], s[20:21]
	s_mov_b32 s20, 0x76041cd
	s_mov_b32 s21, 0x3c83f3dd
	v_fma_f64 v[6:7], v[3:4], v[8:9], -v[6:7]
	v_add_f64 v[6:7], v[6:7], s[20:21]
	s_mov_b32 s20, 0xabd21fe4
	s_mov_b32 s21, 0xbcb4600b
	v_fma_f64 v[8:9], v[3:4], v[6:7], -v[8:9]
	;; [unrolled: 4-line block ×15, first 2 shown]
	v_add_f64 v[6:7], v[6:7], s[20:21]
	s_mov_b32 s20, 0x652b82fe
	s_mov_b32 s21, 0x3ff71547
	v_mul_f64 v[10:11], |v[1:2]|, s[20:21]
	s_mov_b32 s20, 0xa9225b87
	s_mov_b32 s21, 0x3e2d2c64
	v_fma_f64 v[8:9], v[3:4], v[6:7], -v[8:9]
	v_rndne_f64_e32 v[10:11], v[10:11]
	v_add_f64 v[8:9], v[8:9], s[20:21]
	s_mov_b32 s20, 0xfefa39ef
	s_mov_b32 s21, 0xbfe62e42
	v_fma_f64 v[12:13], v[10:11], s[20:21], |v[1:2]|
	s_mov_b32 s20, 0x3b39803f
	s_mov_b32 s21, 0xbc7abc9e
	v_fma_f64 v[6:7], v[3:4], v[8:9], -v[6:7]
	v_fma_f64 v[12:13], v[10:11], s[20:21], v[12:13]
	s_mov_b32 s20, 0x80d6d56d
	s_mov_b32 s21, 0x3e585692
	v_add_f64 v[6:7], v[6:7], s[20:21]
	s_mov_b32 s20, 0xfca7ab0c
	s_mov_b32 s21, 0x3e928af3
	v_fma_f64 v[14:15], v[12:13], s[34:35], s[20:21]
	s_mov_b32 s20, 0x623fde64
	s_mov_b32 s21, 0x3ec71dee
	v_fma_f64 v[8:9], v[3:4], v[6:7], -v[8:9]
	v_fma_f64 v[14:15], v[12:13], v[14:15], s[20:21]
	s_mov_b32 s20, 0xd9cd616e
	s_mov_b32 s21, 0x3e8b8007
	v_add_f64 v[8:9], v[8:9], s[20:21]
	s_mov_b32 s20, 0x7c89e6b0
	s_mov_b32 s21, 0x3efa0199
	v_fma_f64 v[14:15], v[12:13], v[14:15], s[20:21]
	;; [unrolled: 10-line block ×5, first 2 shown]
	s_mov_b32 s20, 0xaca809cb
	s_mov_b32 s21, 0x3fe9be62
	v_fma_f64 v[3:4], v[3:4], v[6:7], -v[8:9]
	v_fma_f64 v[6:7], v[22:23], v[18:19], v[20:21]
	v_cvt_i32_f64_e32 v22, v[10:11]
	v_fma_f64 v[14:15], v[12:13], v[14:15], 1.0
	v_add_f64 v[3:4], v[3:4], s[20:21]
	v_fma_f64 v[20:21], -v[6:7], v[6:7], v[16:17]
	v_fma_f64 v[10:11], v[12:13], v[14:15], 1.0
	v_add_f64 v[3:4], v[3:4], -v[8:9]
	v_fma_f64 v[6:7], v[20:21], v[18:19], v[6:7]
	v_ldexp_f64 v[8:9], v[10:11], v22
	v_mul_f64 v[1:2], v[3:4], 0.5
	v_cndmask_b32_e64 v3, 0, 0xffffff80, s0
	v_cmp_class_f64_e64 s0, v[16:17], 0x260
	v_ldexp_f64 v[3:4], v[6:7], v3
	v_cndmask_b32_e32 v7, 0x7ff00000, v9, vcc_lo
	v_cndmask_b32_e32 v6, 0, v8, vcc_lo
	v_mul_f64 v[1:2], v[6:7], v[1:2]
	v_cndmask_b32_e64 v4, v4, v17, s0
	v_cndmask_b32_e64 v3, v3, v16, s0
	v_div_scale_f64 v[6:7], null, v[3:4], v[3:4], v[1:2]
	v_rcp_f64_e32 v[8:9], v[6:7]
	v_fma_f64 v[10:11], -v[6:7], v[8:9], 1.0
	v_fma_f64 v[8:9], v[8:9], v[10:11], v[8:9]
	v_fma_f64 v[10:11], -v[6:7], v[8:9], 1.0
	v_fma_f64 v[8:9], v[8:9], v[10:11], v[8:9]
	v_div_scale_f64 v[10:11], vcc_lo, v[1:2], v[3:4], v[1:2]
	v_mul_f64 v[12:13], v[10:11], v[8:9]
	v_fma_f64 v[6:7], -v[6:7], v[12:13], v[10:11]
	v_div_fmas_f64 v[6:7], v[6:7], v[8:9], v[12:13]
	v_div_fixup_f64 v[3:4], v[6:7], v[3:4], v[1:2]
.LBB7_137:
	s_or_b32 exec_lo, exec_lo, s1
	v_add_nc_u32_e32 v5, 0x80, v5
	global_store_dwordx2 v0, v[3:4], s[4:5]
	s_or_b32 exec_lo, exec_lo, s30
	s_mov_b32 s20, exec_lo
	v_cmpx_gt_i32_e64 s27, v5
	s_cbranch_execz .LBB7_124
.LBB7_138:
	s_andn2_b32 vcc_lo, exec_lo, s24
	s_cbranch_vccnz .LBB7_143
; %bb.139:
	s_andn2_b32 vcc_lo, exec_lo, s29
	s_cbranch_vccnz .LBB7_144
; %bb.140:
	s_add_i32 s28, s28, 1
	s_cmp_eq_u32 s23, 2
	s_cbranch_scc1 .LBB7_145
; %bb.141:
	v_mov_b32_e32 v2, 0
	v_mov_b32_e32 v0, 0
	;; [unrolled: 1-line block ×3, first 2 shown]
	s_and_b32 s21, s28, 28
	s_mov_b32 s27, 0
	s_mov_b64 s[0:1], s[2:3]
.LBB7_142:                              ; =>This Inner Loop Header: Depth=1
	s_clause 0x1
	s_load_dwordx8 s[36:43], s[0:1], 0x4
	s_load_dwordx4 s[52:55], s[0:1], 0x24
	s_load_dwordx8 s[44:51], s[18:19], 0x0
	s_add_u32 s0, s0, 48
	s_addc_u32 s1, s1, 0
	s_add_i32 s27, s27, 4
	s_add_u32 s18, s18, 32
	s_addc_u32 s19, s19, 0
	s_cmp_eq_u32 s21, s27
	s_waitcnt lgkmcnt(0)
	v_mul_hi_u32 v3, s37, v1
	v_add_nc_u32_e32 v3, v1, v3
	v_lshrrev_b32_e32 v3, s38, v3
	v_mul_hi_u32 v4, s40, v3
	v_mul_lo_u32 v7, v3, s36
	v_add_nc_u32_e32 v4, v3, v4
	v_sub_nc_u32_e32 v1, v1, v7
	v_lshrrev_b32_e32 v4, s41, v4
	v_mul_lo_u32 v7, v1, s44
	v_mul_lo_u32 v9, v1, s45
	v_mul_hi_u32 v6, s43, v4
	v_add_nc_u32_e32 v6, v4, v6
	v_lshrrev_b32_e32 v6, s52, v6
	v_mul_hi_u32 v8, s54, v6
	v_mul_lo_u32 v10, v6, s42
	v_add_nc_u32_e32 v1, v6, v8
	v_mul_lo_u32 v8, v4, s39
	v_sub_nc_u32_e32 v4, v4, v10
	v_lshrrev_b32_e32 v1, s55, v1
	v_mul_lo_u32 v10, v4, s48
	v_mul_lo_u32 v4, v4, s49
	v_sub_nc_u32_e32 v3, v3, v8
	v_mul_lo_u32 v11, v1, s53
	v_mul_lo_u32 v8, v3, s46
	;; [unrolled: 1-line block ×3, first 2 shown]
	v_sub_nc_u32_e32 v6, v6, v11
	v_add3_u32 v0, v7, v0, v8
	v_mul_lo_u32 v11, v6, s50
	v_mul_lo_u32 v6, v6, s51
	v_add3_u32 v2, v9, v2, v3
	v_add3_u32 v0, v10, v0, v11
	;; [unrolled: 1-line block ×3, first 2 shown]
	s_cbranch_scc0 .LBB7_142
	s_branch .LBB7_146
.LBB7_143:
                                        ; implicit-def: $vgpr0
                                        ; implicit-def: $vgpr2
	s_branch .LBB7_150
.LBB7_144:
	v_mov_b32_e32 v0, 0
	v_mov_b32_e32 v2, 0
	s_branch .LBB7_149
.LBB7_145:
	v_mov_b32_e32 v0, 0
	v_mov_b32_e32 v2, 0
	v_mov_b32_e32 v1, v5
	s_mov_b32 s21, 0
.LBB7_146:
	s_and_b32 s27, s28, 3
	s_cmp_eq_u32 s27, 0
	s_cbranch_scc1 .LBB7_149
; %bb.147:
	s_lshl_b32 s0, s21, 3
	s_mul_i32 s18, s21, 12
	s_add_u32 s0, s2, s0
	s_addc_u32 s1, s3, 0
	s_add_u32 s0, s0, 0xc4
	s_addc_u32 s1, s1, 0
	;; [unrolled: 2-line block ×3, first 2 shown]
	.p2align	6
.LBB7_148:                              ; =>This Inner Loop Header: Depth=1
	s_clause 0x1
	s_load_dwordx2 s[28:29], s[18:19], 0x4
	s_load_dword s21, s[18:19], 0xc
	s_load_dwordx2 s[30:31], s[0:1], 0x0
	s_add_u32 s18, s18, 12
	s_addc_u32 s19, s19, 0
	s_add_u32 s0, s0, 8
	s_addc_u32 s1, s1, 0
	s_add_i32 s27, s27, -1
	s_cmp_lg_u32 s27, 0
	s_waitcnt lgkmcnt(0)
	v_mul_hi_u32 v3, s29, v1
	v_add_nc_u32_e32 v3, v1, v3
	v_lshrrev_b32_e32 v4, s21, v3
	v_mul_lo_u32 v3, v4, s28
	v_sub_nc_u32_e32 v3, v1, v3
	v_mad_u64_u32 v[0:1], null, v3, s30, v[0:1]
	v_mad_u64_u32 v[2:3], null, v3, s31, v[2:3]
	v_mov_b32_e32 v1, v4
	s_cbranch_scc1 .LBB7_148
.LBB7_149:
	s_cbranch_execnz .LBB7_152
.LBB7_150:
	s_waitcnt lgkmcnt(0)
	v_mul_hi_u32 v0, s13, v5
	s_andn2_b32 vcc_lo, exec_lo, s26
	v_add_nc_u32_e32 v0, v5, v0
	v_lshrrev_b32_e32 v1, s14, v0
	v_mul_lo_u32 v0, v1, s12
	v_sub_nc_u32_e32 v2, v5, v0
	v_mul_lo_u32 v0, v2, s8
	v_mul_lo_u32 v2, v2, s9
	s_cbranch_vccnz .LBB7_152
; %bb.151:
	v_mul_hi_u32 v3, s16, v1
	v_add_nc_u32_e32 v3, v1, v3
	v_lshrrev_b32_e32 v3, s17, v3
	v_mul_lo_u32 v3, v3, s15
	v_sub_nc_u32_e32 v3, v1, v3
	v_mad_u64_u32 v[0:1], null, v3, s10, v[0:1]
	v_mad_u64_u32 v[2:3], null, v3, s11, v[2:3]
.LBB7_152:
	s_waitcnt lgkmcnt(0)
	global_load_dwordx2 v[1:2], v2, s[6:7]
                                        ; implicit-def: $vgpr3_vgpr4
	s_waitcnt vmcnt(0)
	v_cmp_ge_f64_e64 s0, 0x40200000, |v[1:2]|
	s_and_saveexec_b32 s1, s0
	s_xor_b32 s0, exec_lo, s1
	s_cbranch_execz .LBB7_154
; %bb.153:
	v_fma_f64 v[3:4], |v[1:2]|, 0.5, -2.0
	s_mov_b32 s6, 0x977da589
	s_mov_b32 s7, 0x3c833362
	;; [unrolled: 1-line block ×4, first 2 shown]
	v_fma_f64 v[5:6], v[3:4], s[8:9], s[6:7]
	s_mov_b32 s9, 0x3c545cb7
	s_mov_b32 s6, 0x721ebbb4
	;; [unrolled: 1-line block ×3, first 2 shown]
	v_fma_f64 v[7:8], v[3:4], v[5:6], s[8:9]
	s_mov_b32 s8, 0x3b39803f
	s_mov_b32 s9, 0xbc7abc9e
	v_add_f64 v[7:8], v[7:8], s[6:7]
	s_mov_b32 s6, 0x93f65eba
	s_mov_b32 s7, 0x3cdee6d8
	v_fma_f64 v[5:6], v[3:4], v[7:8], -v[5:6]
	v_add_f64 v[5:6], v[5:6], s[6:7]
	s_mov_b32 s6, 0xc297fbeb
	s_mov_b32 s7, 0xbd0a5022
	v_fma_f64 v[7:8], v[3:4], v[5:6], -v[7:8]
	;; [unrolled: 4-line block ×20, first 2 shown]
	v_add_f64 v[7:8], v[7:8], s[6:7]
	s_mov_b32 s6, 0x652b82fe
	s_mov_b32 s7, 0x3ff71547
	v_mul_f64 v[9:10], |v[1:2]|, s[6:7]
	s_mov_b32 s6, 0xf3dde3dd
	s_mov_b32 s7, 0x3f859961
	v_fma_f64 v[5:6], v[3:4], v[7:8], -v[5:6]
	v_rndne_f64_e32 v[9:10], v[9:10]
	v_add_f64 v[5:6], v[5:6], s[6:7]
	s_mov_b32 s6, 0xfefa39ef
	s_mov_b32 s7, 0xbfe62e42
	v_fma_f64 v[1:2], v[9:10], s[6:7], |v[1:2]|
	s_mov_b32 s6, 0xf121b6f0
	s_mov_b32 s7, 0xbf984e9e
	v_fma_f64 v[7:8], v[3:4], v[5:6], -v[7:8]
	v_fma_f64 v[1:2], v[9:10], s[8:9], v[1:2]
	s_mov_b32 s8, 0x6a5dcb37
	s_mov_b32 s9, 0x3e5ade15
	v_add_f64 v[7:8], v[7:8], s[6:7]
	s_mov_b32 s6, 0xfca7ab0c
	s_mov_b32 s7, 0x3e928af3
	v_fma_f64 v[11:12], v[1:2], s[8:9], s[6:7]
	s_mov_b32 s6, 0xcea8a32d
	s_mov_b32 s8, 0x623fde64
	;; [unrolled: 1-line block ×4, first 2 shown]
	v_fma_f64 v[5:6], v[3:4], v[7:8], -v[5:6]
	v_fma_f64 v[11:12], v[1:2], v[11:12], s[8:9]
	s_mov_b32 s8, 0x14761f6e
	s_mov_b32 s9, 0x3f2a01a0
	v_add_f64 v[5:6], v[5:6], s[6:7]
	s_mov_b32 s6, 0x7c89e6b0
	s_mov_b32 s7, 0x3efa0199
	v_fma_f64 v[11:12], v[1:2], v[11:12], s[6:7]
	s_mov_b32 s6, 0x342d06ea
	s_mov_b32 s7, 0xbfb84b70
	v_fma_f64 v[7:8], v[3:4], v[5:6], -v[7:8]
	v_fma_f64 v[11:12], v[1:2], v[11:12], s[8:9]
	s_mov_b32 s8, 0x11122322
	s_mov_b32 s9, 0x3f811111
	v_add_f64 v[7:8], v[7:8], s[6:7]
	s_mov_b32 s6, 0x1852b7b0
	s_mov_b32 s7, 0x3f56c16c
	v_fma_f64 v[11:12], v[1:2], v[11:12], s[6:7]
	s_mov_b32 s6, 0x77ac88c0
	s_mov_b32 s7, 0x3fc5f7ac
	;; [unrolled: 10-line block ×3, first 2 shown]
	v_fma_f64 v[7:8], v[3:4], v[5:6], -v[7:8]
	v_fma_f64 v[11:12], v[1:2], v[11:12], s[8:9]
	v_add_f64 v[7:8], v[7:8], s[6:7]
	s_mov_b32 s6, 11
	s_mov_b32 s7, 0x3fe00000
	v_fma_f64 v[11:12], v[1:2], v[11:12], s[6:7]
	s_mov_b32 s6, 0x9035a22a
	s_mov_b32 s7, 0x3fe5a84e
	v_fma_f64 v[3:4], v[3:4], v[7:8], -v[5:6]
	v_fma_f64 v[7:8], v[1:2], v[11:12], 1.0
	v_add_f64 v[3:4], v[3:4], s[6:7]
	v_fma_f64 v[1:2], v[1:2], v[7:8], 1.0
	v_cvt_i32_f64_e32 v7, v[9:10]
	v_add_f64 v[3:4], v[3:4], -v[5:6]
	v_ldexp_f64 v[1:2], v[1:2], v7
	v_mul_f64 v[3:4], v[3:4], 0.5
	v_mul_f64 v[3:4], v[1:2], v[3:4]
                                        ; implicit-def: $vgpr1_vgpr2
.LBB7_154:
	s_andn2_saveexec_b32 s1, s0
	s_cbranch_execz .LBB7_156
; %bb.155:
	v_and_b32_e32 v4, 0x7fffffff, v2
	v_mov_b32_e32 v3, v1
	s_mov_b32 s6, 0x66119130
	s_mov_b32 s7, 0xbc5646da
	;; [unrolled: 1-line block ×4, first 2 shown]
	v_div_scale_f64 v[5:6], null, v[3:4], v[3:4], 0x40400000
	v_div_scale_f64 v[3:4], vcc_lo, 0x40400000, v[3:4], 0x40400000
	v_cmp_gt_f64_e64 s0, 0x10000000, |v[1:2]|
	v_rcp_f64_e32 v[7:8], v[5:6]
	v_cndmask_b32_e64 v15, 0, 0x100, s0
	v_ldexp_f64 v[15:16], |v[1:2]|, v15
	v_fma_f64 v[9:10], -v[5:6], v[7:8], 1.0
	v_rsq_f64_e32 v[17:18], v[15:16]
	v_fma_f64 v[7:8], v[7:8], v[9:10], v[7:8]
	v_mul_f64 v[19:20], v[15:16], v[17:18]
	v_mul_f64 v[17:18], v[17:18], 0.5
	v_fma_f64 v[9:10], -v[5:6], v[7:8], 1.0
	v_fma_f64 v[21:22], -v[17:18], v[19:20], 0.5
	v_fma_f64 v[7:8], v[7:8], v[9:10], v[7:8]
	v_fma_f64 v[19:20], v[19:20], v[21:22], v[19:20]
	;; [unrolled: 1-line block ×3, first 2 shown]
	v_mul_f64 v[9:10], v[3:4], v[7:8]
	v_fma_f64 v[21:22], -v[19:20], v[19:20], v[15:16]
	v_fma_f64 v[3:4], -v[5:6], v[9:10], v[3:4]
	v_div_fmas_f64 v[3:4], v[3:4], v[7:8], v[9:10]
	v_cmp_nlt_f64_e64 vcc_lo, 0x40900000, |v[1:2]|
	v_div_fixup_f64 v[3:4], v[3:4], |v[1:2]|, 0x40400000
	v_add_f64 v[3:4], v[3:4], -2.0
	v_fma_f64 v[5:6], v[3:4], s[8:9], s[6:7]
	s_mov_b32 s9, 0x3c60adb7
	s_mov_b32 s6, 0x12d98421
	;; [unrolled: 1-line block ×3, first 2 shown]
	v_fma_f64 v[7:8], v[3:4], v[5:6], s[8:9]
	s_mov_b32 s8, 0x6a5dcb37
	s_mov_b32 s9, 0x3e5ade15
	v_add_f64 v[7:8], v[7:8], s[6:7]
	s_mov_b32 s6, 0x76041cd
	s_mov_b32 s7, 0x3c83f3dd
	v_fma_f64 v[5:6], v[3:4], v[7:8], -v[5:6]
	v_add_f64 v[5:6], v[5:6], s[6:7]
	s_mov_b32 s6, 0xabd21fe4
	s_mov_b32 s7, 0xbcb4600b
	v_fma_f64 v[7:8], v[3:4], v[5:6], -v[7:8]
	;; [unrolled: 4-line block ×15, first 2 shown]
	v_add_f64 v[5:6], v[5:6], s[6:7]
	s_mov_b32 s6, 0x652b82fe
	s_mov_b32 s7, 0x3ff71547
	v_mul_f64 v[9:10], |v[1:2]|, s[6:7]
	s_mov_b32 s6, 0xa9225b87
	s_mov_b32 s7, 0x3e2d2c64
	v_fma_f64 v[7:8], v[3:4], v[5:6], -v[7:8]
	v_rndne_f64_e32 v[9:10], v[9:10]
	v_add_f64 v[7:8], v[7:8], s[6:7]
	s_mov_b32 s6, 0xfefa39ef
	s_mov_b32 s7, 0xbfe62e42
	v_fma_f64 v[11:12], v[9:10], s[6:7], |v[1:2]|
	s_mov_b32 s6, 0x3b39803f
	s_mov_b32 s7, 0xbc7abc9e
	v_fma_f64 v[5:6], v[3:4], v[7:8], -v[5:6]
	v_fma_f64 v[11:12], v[9:10], s[6:7], v[11:12]
	s_mov_b32 s6, 0x80d6d56d
	s_mov_b32 s7, 0x3e585692
	v_add_f64 v[5:6], v[5:6], s[6:7]
	s_mov_b32 s6, 0xfca7ab0c
	s_mov_b32 s7, 0x3e928af3
	v_fma_f64 v[13:14], v[11:12], s[8:9], s[6:7]
	s_mov_b32 s6, 0x623fde64
	s_mov_b32 s7, 0x3ec71dee
	v_fma_f64 v[7:8], v[3:4], v[5:6], -v[7:8]
	v_fma_f64 v[13:14], v[11:12], v[13:14], s[6:7]
	s_mov_b32 s6, 0xd9cd616e
	s_mov_b32 s7, 0x3e8b8007
	v_add_f64 v[7:8], v[7:8], s[6:7]
	s_mov_b32 s6, 0x7c89e6b0
	s_mov_b32 s7, 0x3efa0199
	v_fma_f64 v[13:14], v[11:12], v[13:14], s[6:7]
	;; [unrolled: 10-line block ×5, first 2 shown]
	s_mov_b32 s6, 0xaca809cb
	s_mov_b32 s7, 0x3fe9be62
	v_fma_f64 v[3:4], v[3:4], v[5:6], -v[7:8]
	v_fma_f64 v[5:6], v[21:22], v[17:18], v[19:20]
	v_cvt_i32_f64_e32 v21, v[9:10]
	v_fma_f64 v[13:14], v[11:12], v[13:14], 1.0
	v_add_f64 v[3:4], v[3:4], s[6:7]
	v_fma_f64 v[19:20], -v[5:6], v[5:6], v[15:16]
	v_fma_f64 v[9:10], v[11:12], v[13:14], 1.0
	v_add_f64 v[3:4], v[3:4], -v[7:8]
	v_fma_f64 v[5:6], v[19:20], v[17:18], v[5:6]
	v_ldexp_f64 v[7:8], v[9:10], v21
	v_mul_f64 v[1:2], v[3:4], 0.5
	v_cndmask_b32_e64 v3, 0, 0xffffff80, s0
	v_cmp_class_f64_e64 s0, v[15:16], 0x260
	v_ldexp_f64 v[3:4], v[5:6], v3
	v_cndmask_b32_e32 v6, 0x7ff00000, v8, vcc_lo
	v_cndmask_b32_e32 v5, 0, v7, vcc_lo
	v_mul_f64 v[1:2], v[5:6], v[1:2]
	v_cndmask_b32_e64 v4, v4, v16, s0
	v_cndmask_b32_e64 v3, v3, v15, s0
	v_div_scale_f64 v[5:6], null, v[3:4], v[3:4], v[1:2]
	v_rcp_f64_e32 v[7:8], v[5:6]
	v_fma_f64 v[9:10], -v[5:6], v[7:8], 1.0
	v_fma_f64 v[7:8], v[7:8], v[9:10], v[7:8]
	v_fma_f64 v[9:10], -v[5:6], v[7:8], 1.0
	v_fma_f64 v[7:8], v[7:8], v[9:10], v[7:8]
	v_div_scale_f64 v[9:10], vcc_lo, v[1:2], v[3:4], v[1:2]
	v_mul_f64 v[11:12], v[9:10], v[7:8]
	v_fma_f64 v[5:6], -v[5:6], v[11:12], v[9:10]
	v_div_fmas_f64 v[5:6], v[5:6], v[7:8], v[11:12]
	v_div_fixup_f64 v[3:4], v[5:6], v[3:4], v[1:2]
.LBB7_156:
	s_or_b32 exec_lo, exec_lo, s1
	global_store_dwordx2 v0, v[3:4], s[4:5]
	s_or_b32 exec_lo, exec_lo, s20
                                        ; implicit-def: $vgpr12
                                        ; implicit-def: $vgpr5
	s_andn2_saveexec_b32 s0, s25
	s_cbranch_execz .LBB7_125
	s_branch .LBB7_8
	.section	.rodata,"a",@progbits
	.p2align	6, 0x0
	.amdhsa_kernel _ZN2at6native32elementwise_kernel_manual_unrollILi128ELi4EZNS0_22gpu_kernel_impl_nocastIZZZNS0_12_GLOBAL__N_130modified_bessel_i0_kernel_cudaERNS_18TensorIteratorBaseEENKUlvE_clEvENKUlvE_clEvEUldE_EEvS5_RKT_EUlibE_EEviT1_
		.amdhsa_group_segment_fixed_size 0
		.amdhsa_private_segment_fixed_size 0
		.amdhsa_kernarg_size 360
		.amdhsa_user_sgpr_count 6
		.amdhsa_user_sgpr_private_segment_buffer 1
		.amdhsa_user_sgpr_dispatch_ptr 0
		.amdhsa_user_sgpr_queue_ptr 0
		.amdhsa_user_sgpr_kernarg_segment_ptr 1
		.amdhsa_user_sgpr_dispatch_id 0
		.amdhsa_user_sgpr_flat_scratch_init 0
		.amdhsa_user_sgpr_private_segment_size 0
		.amdhsa_wavefront_size32 1
		.amdhsa_uses_dynamic_stack 0
		.amdhsa_system_sgpr_private_segment_wavefront_offset 0
		.amdhsa_system_sgpr_workgroup_id_x 1
		.amdhsa_system_sgpr_workgroup_id_y 0
		.amdhsa_system_sgpr_workgroup_id_z 0
		.amdhsa_system_sgpr_workgroup_info 0
		.amdhsa_system_vgpr_workitem_id 0
		.amdhsa_next_free_vgpr 33
		.amdhsa_next_free_sgpr 56
		.amdhsa_reserve_vcc 1
		.amdhsa_reserve_flat_scratch 0
		.amdhsa_float_round_mode_32 0
		.amdhsa_float_round_mode_16_64 0
		.amdhsa_float_denorm_mode_32 3
		.amdhsa_float_denorm_mode_16_64 3
		.amdhsa_dx10_clamp 1
		.amdhsa_ieee_mode 1
		.amdhsa_fp16_overflow 0
		.amdhsa_workgroup_processor_mode 1
		.amdhsa_memory_ordered 1
		.amdhsa_forward_progress 1
		.amdhsa_shared_vgpr_count 0
		.amdhsa_exception_fp_ieee_invalid_op 0
		.amdhsa_exception_fp_denorm_src 0
		.amdhsa_exception_fp_ieee_div_zero 0
		.amdhsa_exception_fp_ieee_overflow 0
		.amdhsa_exception_fp_ieee_underflow 0
		.amdhsa_exception_fp_ieee_inexact 0
		.amdhsa_exception_int_div_zero 0
	.end_amdhsa_kernel
	.section	.text._ZN2at6native32elementwise_kernel_manual_unrollILi128ELi4EZNS0_22gpu_kernel_impl_nocastIZZZNS0_12_GLOBAL__N_130modified_bessel_i0_kernel_cudaERNS_18TensorIteratorBaseEENKUlvE_clEvENKUlvE_clEvEUldE_EEvS5_RKT_EUlibE_EEviT1_,"axG",@progbits,_ZN2at6native32elementwise_kernel_manual_unrollILi128ELi4EZNS0_22gpu_kernel_impl_nocastIZZZNS0_12_GLOBAL__N_130modified_bessel_i0_kernel_cudaERNS_18TensorIteratorBaseEENKUlvE_clEvENKUlvE_clEvEUldE_EEvS5_RKT_EUlibE_EEviT1_,comdat
.Lfunc_end7:
	.size	_ZN2at6native32elementwise_kernel_manual_unrollILi128ELi4EZNS0_22gpu_kernel_impl_nocastIZZZNS0_12_GLOBAL__N_130modified_bessel_i0_kernel_cudaERNS_18TensorIteratorBaseEENKUlvE_clEvENKUlvE_clEvEUldE_EEvS5_RKT_EUlibE_EEviT1_, .Lfunc_end7-_ZN2at6native32elementwise_kernel_manual_unrollILi128ELi4EZNS0_22gpu_kernel_impl_nocastIZZZNS0_12_GLOBAL__N_130modified_bessel_i0_kernel_cudaERNS_18TensorIteratorBaseEENKUlvE_clEvENKUlvE_clEvEUldE_EEvS5_RKT_EUlibE_EEviT1_
                                        ; -- End function
	.set _ZN2at6native32elementwise_kernel_manual_unrollILi128ELi4EZNS0_22gpu_kernel_impl_nocastIZZZNS0_12_GLOBAL__N_130modified_bessel_i0_kernel_cudaERNS_18TensorIteratorBaseEENKUlvE_clEvENKUlvE_clEvEUldE_EEvS5_RKT_EUlibE_EEviT1_.num_vgpr, 33
	.set _ZN2at6native32elementwise_kernel_manual_unrollILi128ELi4EZNS0_22gpu_kernel_impl_nocastIZZZNS0_12_GLOBAL__N_130modified_bessel_i0_kernel_cudaERNS_18TensorIteratorBaseEENKUlvE_clEvENKUlvE_clEvEUldE_EEvS5_RKT_EUlibE_EEviT1_.num_agpr, 0
	.set _ZN2at6native32elementwise_kernel_manual_unrollILi128ELi4EZNS0_22gpu_kernel_impl_nocastIZZZNS0_12_GLOBAL__N_130modified_bessel_i0_kernel_cudaERNS_18TensorIteratorBaseEENKUlvE_clEvENKUlvE_clEvEUldE_EEvS5_RKT_EUlibE_EEviT1_.numbered_sgpr, 56
	.set _ZN2at6native32elementwise_kernel_manual_unrollILi128ELi4EZNS0_22gpu_kernel_impl_nocastIZZZNS0_12_GLOBAL__N_130modified_bessel_i0_kernel_cudaERNS_18TensorIteratorBaseEENKUlvE_clEvENKUlvE_clEvEUldE_EEvS5_RKT_EUlibE_EEviT1_.num_named_barrier, 0
	.set _ZN2at6native32elementwise_kernel_manual_unrollILi128ELi4EZNS0_22gpu_kernel_impl_nocastIZZZNS0_12_GLOBAL__N_130modified_bessel_i0_kernel_cudaERNS_18TensorIteratorBaseEENKUlvE_clEvENKUlvE_clEvEUldE_EEvS5_RKT_EUlibE_EEviT1_.private_seg_size, 0
	.set _ZN2at6native32elementwise_kernel_manual_unrollILi128ELi4EZNS0_22gpu_kernel_impl_nocastIZZZNS0_12_GLOBAL__N_130modified_bessel_i0_kernel_cudaERNS_18TensorIteratorBaseEENKUlvE_clEvENKUlvE_clEvEUldE_EEvS5_RKT_EUlibE_EEviT1_.uses_vcc, 1
	.set _ZN2at6native32elementwise_kernel_manual_unrollILi128ELi4EZNS0_22gpu_kernel_impl_nocastIZZZNS0_12_GLOBAL__N_130modified_bessel_i0_kernel_cudaERNS_18TensorIteratorBaseEENKUlvE_clEvENKUlvE_clEvEUldE_EEvS5_RKT_EUlibE_EEviT1_.uses_flat_scratch, 0
	.set _ZN2at6native32elementwise_kernel_manual_unrollILi128ELi4EZNS0_22gpu_kernel_impl_nocastIZZZNS0_12_GLOBAL__N_130modified_bessel_i0_kernel_cudaERNS_18TensorIteratorBaseEENKUlvE_clEvENKUlvE_clEvEUldE_EEvS5_RKT_EUlibE_EEviT1_.has_dyn_sized_stack, 0
	.set _ZN2at6native32elementwise_kernel_manual_unrollILi128ELi4EZNS0_22gpu_kernel_impl_nocastIZZZNS0_12_GLOBAL__N_130modified_bessel_i0_kernel_cudaERNS_18TensorIteratorBaseEENKUlvE_clEvENKUlvE_clEvEUldE_EEvS5_RKT_EUlibE_EEviT1_.has_recursion, 0
	.set _ZN2at6native32elementwise_kernel_manual_unrollILi128ELi4EZNS0_22gpu_kernel_impl_nocastIZZZNS0_12_GLOBAL__N_130modified_bessel_i0_kernel_cudaERNS_18TensorIteratorBaseEENKUlvE_clEvENKUlvE_clEvEUldE_EEvS5_RKT_EUlibE_EEviT1_.has_indirect_call, 0
	.section	.AMDGPU.csdata,"",@progbits
; Kernel info:
; codeLenInByte = 29036
; TotalNumSgprs: 58
; NumVgprs: 33
; ScratchSize: 0
; MemoryBound: 0
; FloatMode: 240
; IeeeMode: 1
; LDSByteSize: 0 bytes/workgroup (compile time only)
; SGPRBlocks: 0
; VGPRBlocks: 4
; NumSGPRsForWavesPerEU: 58
; NumVGPRsForWavesPerEU: 33
; Occupancy: 16
; WaveLimiterHint : 1
; COMPUTE_PGM_RSRC2:SCRATCH_EN: 0
; COMPUTE_PGM_RSRC2:USER_SGPR: 6
; COMPUTE_PGM_RSRC2:TRAP_HANDLER: 0
; COMPUTE_PGM_RSRC2:TGID_X_EN: 1
; COMPUTE_PGM_RSRC2:TGID_Y_EN: 0
; COMPUTE_PGM_RSRC2:TGID_Z_EN: 0
; COMPUTE_PGM_RSRC2:TIDIG_COMP_CNT: 0
	.section	.text._ZN2at6native32elementwise_kernel_manual_unrollILi128ELi4EZNS0_15gpu_kernel_implIZZZNS0_12_GLOBAL__N_130modified_bessel_i0_kernel_cudaERNS_18TensorIteratorBaseEENKUlvE_clEvENKUlvE_clEvEUldE_EEvS5_RKT_EUlibE_EEviT1_,"axG",@progbits,_ZN2at6native32elementwise_kernel_manual_unrollILi128ELi4EZNS0_15gpu_kernel_implIZZZNS0_12_GLOBAL__N_130modified_bessel_i0_kernel_cudaERNS_18TensorIteratorBaseEENKUlvE_clEvENKUlvE_clEvEUldE_EEvS5_RKT_EUlibE_EEviT1_,comdat
	.globl	_ZN2at6native32elementwise_kernel_manual_unrollILi128ELi4EZNS0_15gpu_kernel_implIZZZNS0_12_GLOBAL__N_130modified_bessel_i0_kernel_cudaERNS_18TensorIteratorBaseEENKUlvE_clEvENKUlvE_clEvEUldE_EEvS5_RKT_EUlibE_EEviT1_ ; -- Begin function _ZN2at6native32elementwise_kernel_manual_unrollILi128ELi4EZNS0_15gpu_kernel_implIZZZNS0_12_GLOBAL__N_130modified_bessel_i0_kernel_cudaERNS_18TensorIteratorBaseEENKUlvE_clEvENKUlvE_clEvEUldE_EEvS5_RKT_EUlibE_EEviT1_
	.p2align	8
	.type	_ZN2at6native32elementwise_kernel_manual_unrollILi128ELi4EZNS0_15gpu_kernel_implIZZZNS0_12_GLOBAL__N_130modified_bessel_i0_kernel_cudaERNS_18TensorIteratorBaseEENKUlvE_clEvENKUlvE_clEvEUldE_EEvS5_RKT_EUlibE_EEviT1_,@function
_ZN2at6native32elementwise_kernel_manual_unrollILi128ELi4EZNS0_15gpu_kernel_implIZZZNS0_12_GLOBAL__N_130modified_bessel_i0_kernel_cudaERNS_18TensorIteratorBaseEENKUlvE_clEvENKUlvE_clEvEUldE_EEvS5_RKT_EUlibE_EEviT1_: ; @_ZN2at6native32elementwise_kernel_manual_unrollILi128ELi4EZNS0_15gpu_kernel_implIZZZNS0_12_GLOBAL__N_130modified_bessel_i0_kernel_cudaERNS_18TensorIteratorBaseEENKUlvE_clEvENKUlvE_clEvEUldE_EEvS5_RKT_EUlibE_EEviT1_
; %bb.0:
	v_mov_b32_e32 v1, 0
	s_clause 0x2
	s_load_dword s12, s[4:5], 0x0
	s_load_dwordx2 s[2:3], s[4:5], 0x18
	s_load_dwordx4 s[8:11], s[4:5], 0x8
	v_lshl_or_b32 v10, s6, 9, v0
	s_mov_b32 s7, 0
	global_load_ushort v1, v1, s[4:5] offset:33
	s_mov_b32 s4, 0
	v_or_b32_e32 v0, 0x180, v10
	s_waitcnt vmcnt(0)
	v_readfirstlane_b32 s1, v1
	s_and_b32 s0, 0xffff, s1
	s_lshr_b32 s5, s0, 8
	s_mov_b32 s0, exec_lo
	s_waitcnt lgkmcnt(0)
	v_cmpx_le_i32_e64 s12, v0
	s_xor_b32 s6, exec_lo, s0
	s_cbranch_execz .LBB8_1047
; %bb.1:
	s_mov_b32 s17, -1
	s_mov_b32 s15, 0
	s_mov_b32 s13, 0
	s_mov_b32 s14, exec_lo
	v_cmpx_gt_i32_e64 s12, v10
	s_cbranch_execz .LBB8_256
; %bb.2:
	v_mul_lo_u32 v0, v10, s3
	s_and_b32 s0, 0xffff, s5
	s_cmp_lt_i32 s0, 11
	v_ashrrev_i32_e32 v1, 31, v0
	v_add_co_u32 v0, vcc_lo, s10, v0
	v_add_co_ci_u32_e64 v1, null, s11, v1, vcc_lo
	s_cbranch_scc1 .LBB8_9
; %bb.3:
	s_cmp_gt_i32 s0, 25
	s_cbranch_scc0 .LBB8_22
; %bb.4:
	s_cmp_gt_i32 s0, 28
	s_cbranch_scc0 .LBB8_25
	;; [unrolled: 3-line block ×4, first 2 shown]
; %bb.7:
	s_cmp_eq_u32 s0, 46
	s_mov_b32 s16, 0
	s_cbranch_scc0 .LBB8_31
; %bb.8:
	global_load_dword v2, v[0:1], off
	s_mov_b32 s7, -1
	s_waitcnt vmcnt(0)
	v_lshlrev_b32_e32 v2, 16, v2
	v_cvt_f64_f32_e32 v[2:3], v2
	s_branch .LBB8_33
.LBB8_9:
                                        ; implicit-def: $vgpr2_vgpr3
	s_cbranch_execnz .LBB8_206
.LBB8_10:
	s_andn2_b32 vcc_lo, exec_lo, s7
	s_cbranch_vccnz .LBB8_253
.LBB8_11:
	s_waitcnt vmcnt(0)
	v_cmp_ge_f64_e64 s0, 0x40200000, |v[2:3]|
                                        ; implicit-def: $vgpr0_vgpr1
	s_and_saveexec_b32 s7, s0
	s_xor_b32 s0, exec_lo, s7
	s_cbranch_execz .LBB8_13
; %bb.12:
	v_fma_f64 v[0:1], |v[2:3]|, 0.5, -2.0
	s_mov_b32 s16, 0x977da589
	s_mov_b32 s17, 0x3c833362
	;; [unrolled: 1-line block ×4, first 2 shown]
	v_fma_f64 v[4:5], v[0:1], s[18:19], s[16:17]
	s_mov_b32 s19, 0x3c545cb7
	s_mov_b32 s16, 0x721ebbb4
	;; [unrolled: 1-line block ×3, first 2 shown]
	v_fma_f64 v[6:7], v[0:1], v[4:5], s[18:19]
	s_mov_b32 s18, 0x3b39803f
	s_mov_b32 s19, 0xbc7abc9e
	v_add_f64 v[6:7], v[6:7], s[16:17]
	s_mov_b32 s16, 0x93f65eba
	s_mov_b32 s17, 0x3cdee6d8
	v_fma_f64 v[4:5], v[0:1], v[6:7], -v[4:5]
	v_add_f64 v[4:5], v[4:5], s[16:17]
	s_mov_b32 s16, 0xc297fbeb
	s_mov_b32 s17, 0xbd0a5022
	v_fma_f64 v[6:7], v[0:1], v[4:5], -v[6:7]
	;; [unrolled: 4-line block ×20, first 2 shown]
	v_add_f64 v[6:7], v[6:7], s[16:17]
	s_mov_b32 s16, 0x652b82fe
	s_mov_b32 s17, 0x3ff71547
	v_mul_f64 v[8:9], |v[2:3]|, s[16:17]
	s_mov_b32 s16, 0xf3dde3dd
	s_mov_b32 s17, 0x3f859961
	v_fma_f64 v[4:5], v[0:1], v[6:7], -v[4:5]
	v_rndne_f64_e32 v[8:9], v[8:9]
	v_add_f64 v[4:5], v[4:5], s[16:17]
	s_mov_b32 s16, 0xfefa39ef
	s_mov_b32 s17, 0xbfe62e42
	v_fma_f64 v[2:3], v[8:9], s[16:17], |v[2:3]|
	s_mov_b32 s16, 0xf121b6f0
	s_mov_b32 s17, 0xbf984e9e
	v_fma_f64 v[6:7], v[0:1], v[4:5], -v[6:7]
	v_fma_f64 v[2:3], v[8:9], s[18:19], v[2:3]
	s_mov_b32 s18, 0x6a5dcb37
	s_mov_b32 s19, 0x3e5ade15
	v_add_f64 v[6:7], v[6:7], s[16:17]
	s_mov_b32 s16, 0xfca7ab0c
	s_mov_b32 s17, 0x3e928af3
	v_fma_f64 v[11:12], v[2:3], s[18:19], s[16:17]
	s_mov_b32 s16, 0xcea8a32d
	s_mov_b32 s18, 0x623fde64
	;; [unrolled: 1-line block ×4, first 2 shown]
	v_fma_f64 v[4:5], v[0:1], v[6:7], -v[4:5]
	v_fma_f64 v[11:12], v[2:3], v[11:12], s[18:19]
	s_mov_b32 s18, 0x14761f6e
	s_mov_b32 s19, 0x3f2a01a0
	v_add_f64 v[4:5], v[4:5], s[16:17]
	s_mov_b32 s16, 0x7c89e6b0
	s_mov_b32 s17, 0x3efa0199
	v_fma_f64 v[11:12], v[2:3], v[11:12], s[16:17]
	s_mov_b32 s16, 0x342d06ea
	s_mov_b32 s17, 0xbfb84b70
	v_fma_f64 v[6:7], v[0:1], v[4:5], -v[6:7]
	v_fma_f64 v[11:12], v[2:3], v[11:12], s[18:19]
	s_mov_b32 s18, 0x11122322
	s_mov_b32 s19, 0x3f811111
	v_add_f64 v[6:7], v[6:7], s[16:17]
	s_mov_b32 s16, 0x1852b7b0
	s_mov_b32 s17, 0x3f56c16c
	v_fma_f64 v[11:12], v[2:3], v[11:12], s[16:17]
	s_mov_b32 s16, 0x77ac88c0
	s_mov_b32 s17, 0x3fc5f7ac
	;; [unrolled: 10-line block ×3, first 2 shown]
	v_fma_f64 v[6:7], v[0:1], v[4:5], -v[6:7]
	v_fma_f64 v[11:12], v[2:3], v[11:12], s[18:19]
	v_add_f64 v[6:7], v[6:7], s[16:17]
	s_mov_b32 s16, 11
	s_mov_b32 s17, 0x3fe00000
	v_fma_f64 v[11:12], v[2:3], v[11:12], s[16:17]
	s_mov_b32 s16, 0x9035a22a
	s_mov_b32 s17, 0x3fe5a84e
	v_fma_f64 v[0:1], v[0:1], v[6:7], -v[4:5]
	v_fma_f64 v[6:7], v[2:3], v[11:12], 1.0
	v_add_f64 v[0:1], v[0:1], s[16:17]
	v_fma_f64 v[2:3], v[2:3], v[6:7], 1.0
	v_cvt_i32_f64_e32 v6, v[8:9]
	v_add_f64 v[0:1], v[0:1], -v[4:5]
	v_ldexp_f64 v[2:3], v[2:3], v6
	v_mul_f64 v[0:1], v[0:1], 0.5
	v_mul_f64 v[0:1], v[2:3], v[0:1]
                                        ; implicit-def: $vgpr2_vgpr3
.LBB8_13:
	s_andn2_saveexec_b32 s7, s0
	s_cbranch_execz .LBB8_15
; %bb.14:
	v_and_b32_e32 v1, 0x7fffffff, v3
	v_mov_b32_e32 v0, v2
	s_mov_b32 s16, 0x66119130
	s_mov_b32 s17, 0xbc5646da
	;; [unrolled: 1-line block ×4, first 2 shown]
	v_div_scale_f64 v[4:5], null, v[0:1], v[0:1], 0x40400000
	v_div_scale_f64 v[0:1], vcc_lo, 0x40400000, v[0:1], 0x40400000
	v_cmp_gt_f64_e64 s0, 0x10000000, |v[2:3]|
	v_rcp_f64_e32 v[6:7], v[4:5]
	v_cndmask_b32_e64 v15, 0, 0x100, s0
	v_ldexp_f64 v[15:16], |v[2:3]|, v15
	v_fma_f64 v[8:9], -v[4:5], v[6:7], 1.0
	v_rsq_f64_e32 v[17:18], v[15:16]
	v_fma_f64 v[6:7], v[6:7], v[8:9], v[6:7]
	v_mul_f64 v[19:20], v[15:16], v[17:18]
	v_mul_f64 v[17:18], v[17:18], 0.5
	v_fma_f64 v[8:9], -v[4:5], v[6:7], 1.0
	v_fma_f64 v[21:22], -v[17:18], v[19:20], 0.5
	v_fma_f64 v[6:7], v[6:7], v[8:9], v[6:7]
	v_fma_f64 v[19:20], v[19:20], v[21:22], v[19:20]
	;; [unrolled: 1-line block ×3, first 2 shown]
	v_mul_f64 v[8:9], v[0:1], v[6:7]
	v_fma_f64 v[21:22], -v[19:20], v[19:20], v[15:16]
	v_fma_f64 v[0:1], -v[4:5], v[8:9], v[0:1]
	v_div_fmas_f64 v[0:1], v[0:1], v[6:7], v[8:9]
	v_cmp_nlt_f64_e64 vcc_lo, 0x40900000, |v[2:3]|
	v_div_fixup_f64 v[0:1], v[0:1], |v[2:3]|, 0x40400000
	v_add_f64 v[0:1], v[0:1], -2.0
	v_fma_f64 v[4:5], v[0:1], s[18:19], s[16:17]
	s_mov_b32 s19, 0x3c60adb7
	s_mov_b32 s16, 0x12d98421
	;; [unrolled: 1-line block ×3, first 2 shown]
	v_fma_f64 v[6:7], v[0:1], v[4:5], s[18:19]
	s_mov_b32 s18, 0x6a5dcb37
	s_mov_b32 s19, 0x3e5ade15
	v_add_f64 v[6:7], v[6:7], s[16:17]
	s_mov_b32 s16, 0x76041cd
	s_mov_b32 s17, 0x3c83f3dd
	v_fma_f64 v[4:5], v[0:1], v[6:7], -v[4:5]
	v_add_f64 v[4:5], v[4:5], s[16:17]
	s_mov_b32 s16, 0xabd21fe4
	s_mov_b32 s17, 0xbcb4600b
	v_fma_f64 v[6:7], v[0:1], v[4:5], -v[6:7]
	;; [unrolled: 4-line block ×15, first 2 shown]
	v_add_f64 v[4:5], v[4:5], s[16:17]
	s_mov_b32 s16, 0x652b82fe
	s_mov_b32 s17, 0x3ff71547
	v_mul_f64 v[8:9], |v[2:3]|, s[16:17]
	s_mov_b32 s16, 0xa9225b87
	s_mov_b32 s17, 0x3e2d2c64
	v_fma_f64 v[6:7], v[0:1], v[4:5], -v[6:7]
	v_rndne_f64_e32 v[8:9], v[8:9]
	v_add_f64 v[6:7], v[6:7], s[16:17]
	s_mov_b32 s16, 0xfefa39ef
	s_mov_b32 s17, 0xbfe62e42
	v_fma_f64 v[11:12], v[8:9], s[16:17], |v[2:3]|
	s_mov_b32 s16, 0x3b39803f
	s_mov_b32 s17, 0xbc7abc9e
	v_cndmask_b32_e64 v2, 0, 0xffffff80, s0
	v_cmp_class_f64_e64 s0, v[15:16], 0x260
	v_fma_f64 v[4:5], v[0:1], v[6:7], -v[4:5]
	v_fma_f64 v[11:12], v[8:9], s[16:17], v[11:12]
	s_mov_b32 s16, 0x80d6d56d
	s_mov_b32 s17, 0x3e585692
	v_add_f64 v[4:5], v[4:5], s[16:17]
	s_mov_b32 s16, 0xfca7ab0c
	s_mov_b32 s17, 0x3e928af3
	v_fma_f64 v[13:14], v[11:12], s[18:19], s[16:17]
	s_mov_b32 s16, 0x623fde64
	s_mov_b32 s17, 0x3ec71dee
	v_fma_f64 v[6:7], v[0:1], v[4:5], -v[6:7]
	v_fma_f64 v[13:14], v[11:12], v[13:14], s[16:17]
	s_mov_b32 s16, 0xd9cd616e
	s_mov_b32 s17, 0x3e8b8007
	v_add_f64 v[6:7], v[6:7], s[16:17]
	s_mov_b32 s16, 0x7c89e6b0
	s_mov_b32 s17, 0x3efa0199
	v_fma_f64 v[13:14], v[11:12], v[13:14], s[16:17]
	s_mov_b32 s16, 0x14761f6e
	s_mov_b32 s17, 0x3f2a01a0
	v_fma_f64 v[4:5], v[0:1], v[6:7], -v[4:5]
	v_fma_f64 v[13:14], v[11:12], v[13:14], s[16:17]
	s_mov_b32 s16, 0xc101c586
	s_mov_b32 s17, 0x3ec8412b
	v_add_f64 v[4:5], v[4:5], s[16:17]
	s_mov_b32 s16, 0x1852b7b0
	s_mov_b32 s17, 0x3f56c16c
	v_fma_f64 v[13:14], v[11:12], v[13:14], s[16:17]
	s_mov_b32 s16, 0x11122322
	s_mov_b32 s17, 0x3f811111
	v_fma_f64 v[6:7], v[0:1], v[4:5], -v[6:7]
	v_fma_f64 v[13:14], v[11:12], v[13:14], s[16:17]
	s_mov_b32 s16, 0x78999e52
	s_mov_b32 s17, 0x3f120fa3
	v_add_f64 v[6:7], v[6:7], s[16:17]
	s_mov_b32 s16, 0x555502a1
	s_mov_b32 s17, 0x3fa55555
	v_fma_f64 v[13:14], v[11:12], v[13:14], s[16:17]
	s_mov_b32 s16, 0x55555511
	s_mov_b32 s17, 0x3fc55555
	v_fma_f64 v[4:5], v[0:1], v[6:7], -v[4:5]
	v_fma_f64 v[13:14], v[11:12], v[13:14], s[16:17]
	s_mov_b32 s16, 0xa2e59049
	s_mov_b32 s17, 0x3f6b998c
	v_add_f64 v[4:5], v[4:5], s[16:17]
	s_mov_b32 s16, 11
	s_mov_b32 s17, 0x3fe00000
	v_fma_f64 v[13:14], v[11:12], v[13:14], s[16:17]
	s_mov_b32 s16, 0xaca809cb
	s_mov_b32 s17, 0x3fe9be62
	v_fma_f64 v[0:1], v[0:1], v[4:5], -v[6:7]
	v_fma_f64 v[4:5], v[21:22], v[17:18], v[19:20]
	v_cvt_i32_f64_e32 v21, v[8:9]
	v_fma_f64 v[13:14], v[11:12], v[13:14], 1.0
	v_add_f64 v[0:1], v[0:1], s[16:17]
	v_fma_f64 v[19:20], -v[4:5], v[4:5], v[15:16]
	v_fma_f64 v[8:9], v[11:12], v[13:14], 1.0
	v_add_f64 v[0:1], v[0:1], -v[6:7]
	v_fma_f64 v[4:5], v[19:20], v[17:18], v[4:5]
	v_ldexp_f64 v[6:7], v[8:9], v21
	v_mul_f64 v[0:1], v[0:1], 0.5
	v_ldexp_f64 v[2:3], v[4:5], v2
	v_cndmask_b32_e32 v5, 0x7ff00000, v7, vcc_lo
	v_cndmask_b32_e32 v4, 0, v6, vcc_lo
	v_mul_f64 v[0:1], v[4:5], v[0:1]
	v_cndmask_b32_e64 v3, v3, v16, s0
	v_cndmask_b32_e64 v2, v2, v15, s0
	v_div_scale_f64 v[4:5], null, v[2:3], v[2:3], v[0:1]
	v_rcp_f64_e32 v[6:7], v[4:5]
	v_fma_f64 v[8:9], -v[4:5], v[6:7], 1.0
	v_fma_f64 v[6:7], v[6:7], v[8:9], v[6:7]
	v_fma_f64 v[8:9], -v[4:5], v[6:7], 1.0
	v_fma_f64 v[6:7], v[6:7], v[8:9], v[6:7]
	v_div_scale_f64 v[8:9], vcc_lo, v[0:1], v[2:3], v[0:1]
	v_mul_f64 v[11:12], v[8:9], v[6:7]
	v_fma_f64 v[4:5], -v[4:5], v[11:12], v[8:9]
	v_div_fmas_f64 v[4:5], v[4:5], v[6:7], v[11:12]
	v_div_fixup_f64 v[0:1], v[4:5], v[2:3], v[0:1]
.LBB8_15:
	s_or_b32 exec_lo, exec_lo, s7
	v_mul_lo_u32 v2, v10, s2
	s_and_b32 s7, s1, 0xff
	s_cmp_lt_i32 s7, 11
	v_ashrrev_i32_e32 v3, 31, v2
	v_add_co_u32 v4, vcc_lo, s8, v2
	v_add_co_ci_u32_e64 v5, null, s9, v3, vcc_lo
	s_cbranch_scc1 .LBB8_23
; %bb.16:
	s_and_b32 s16, 0xffff, s7
	s_cmp_gt_i32 s16, 25
	s_cbranch_scc0 .LBB8_26
; %bb.17:
	s_cmp_gt_i32 s16, 28
	s_cbranch_scc0 .LBB8_28
; %bb.18:
	;; [unrolled: 3-line block ×4, first 2 shown]
	s_mov_b32 s18, 0
	s_mov_b32 s0, -1
	s_cmp_eq_u32 s16, 46
	s_mov_b32 s17, 0
	s_cbranch_scc0 .LBB8_37
; %bb.21:
	v_cvt_f32_f64_e32 v2, v[0:1]
	s_mov_b32 s17, -1
	s_mov_b32 s0, 0
	v_bfe_u32 v3, v2, 16, 1
	v_cmp_o_f32_e32 vcc_lo, v2, v2
	v_add3_u32 v2, v2, v3, 0x7fff
	v_mov_b32_e32 v3, 0x7fc0
	v_cndmask_b32_sdwa v2, v3, v2, vcc_lo dst_sel:DWORD dst_unused:UNUSED_PAD src0_sel:DWORD src1_sel:WORD_1
	global_store_dword v[4:5], v2, off
	s_branch .LBB8_37
.LBB8_22:
                                        ; implicit-def: $vgpr2_vgpr3
	s_cbranch_execnz .LBB8_173
	s_branch .LBB8_205
.LBB8_23:
	s_mov_b32 s0, 0
	s_mov_b32 s17, 0
	s_cbranch_execnz .LBB8_106
.LBB8_24:
	s_andn2_b32 vcc_lo, exec_lo, s17
	s_cbranch_vccnz .LBB8_254
	s_branch .LBB8_144
.LBB8_25:
	s_mov_b32 s16, -1
                                        ; implicit-def: $vgpr2_vgpr3
	s_branch .LBB8_152
.LBB8_26:
	s_mov_b32 s18, -1
	s_mov_b32 s0, 0
	s_mov_b32 s17, 0
	s_branch .LBB8_64
.LBB8_27:
	s_mov_b32 s16, -1
                                        ; implicit-def: $vgpr2_vgpr3
	s_branch .LBB8_147
.LBB8_28:
	s_mov_b32 s18, -1
	s_mov_b32 s0, 0
	s_mov_b32 s17, 0
	s_branch .LBB8_47
.LBB8_29:
	s_mov_b32 s16, -1
	s_branch .LBB8_32
.LBB8_30:
	s_mov_b32 s18, -1
	s_mov_b32 s0, 0
	s_mov_b32 s17, 0
	s_branch .LBB8_43
.LBB8_31:
	s_mov_b32 s13, -1
.LBB8_32:
                                        ; implicit-def: $vgpr2_vgpr3
.LBB8_33:
	s_and_b32 vcc_lo, exec_lo, s16
	s_cbranch_vccz .LBB8_146
; %bb.34:
	s_cmp_eq_u32 s0, 44
	s_cbranch_scc0 .LBB8_145
; %bb.35:
	global_load_ubyte v4, v[0:1], off
	s_mov_b32 s13, 0
	s_mov_b32 s7, -1
	s_waitcnt vmcnt(0)
	v_lshlrev_b32_e32 v2, 23, v4
	v_cmp_ne_u32_e32 vcc_lo, 0xff, v4
	v_cvt_f64_f32_e32 v[2:3], v2
	v_cndmask_b32_e32 v2, 0x20000000, v2, vcc_lo
	v_cndmask_b32_e32 v3, 0x7ff80000, v3, vcc_lo
	v_cmp_ne_u32_e32 vcc_lo, 0, v4
	v_cndmask_b32_e32 v3, 0x38000000, v3, vcc_lo
	v_cndmask_b32_e32 v2, 0, v2, vcc_lo
	s_branch .LBB8_146
.LBB8_36:
	s_mov_b32 s18, -1
	s_mov_b32 s0, 0
	s_mov_b32 s17, 0
.LBB8_37:
	s_and_b32 vcc_lo, exec_lo, s18
	s_cbranch_vccz .LBB8_42
; %bb.38:
	s_cmp_eq_u32 s16, 44
	s_mov_b32 s0, -1
	s_cbranch_scc0 .LBB8_42
; %bb.39:
	v_cvt_f32_f64_e32 v2, v[0:1]
	v_mov_b32_e32 v3, 0xff
	s_mov_b32 s17, exec_lo
	v_bfe_u32 v6, v2, 23, 8
	v_cmpx_ne_u32_e32 0xff, v6
	s_cbranch_execz .LBB8_41
; %bb.40:
	v_and_b32_e32 v3, 0x400000, v2
	v_and_or_b32 v6, 0x3fffff, v2, v6
	v_lshrrev_b32_e32 v2, 23, v2
	v_cmp_ne_u32_e32 vcc_lo, 0, v3
	v_cmp_ne_u32_e64 s0, 0, v6
	s_and_b32 s0, vcc_lo, s0
	v_cndmask_b32_e64 v3, 0, 1, s0
	v_add_nc_u32_e32 v3, v2, v3
.LBB8_41:
	s_or_b32 exec_lo, exec_lo, s17
	s_mov_b32 s17, -1
	s_mov_b32 s0, 0
	global_store_byte v[4:5], v3, off
.LBB8_42:
	s_mov_b32 s18, 0
.LBB8_43:
	s_and_b32 vcc_lo, exec_lo, s18
	s_cbranch_vccz .LBB8_46
; %bb.44:
	s_cmp_eq_u32 s16, 29
	s_mov_b32 s0, -1
	s_cbranch_scc0 .LBB8_46
; %bb.45:
	v_trunc_f64_e32 v[2:3], v[0:1]
	s_mov_b32 s17, -1
	s_mov_b32 s0, 0
	s_mov_b32 s18, 0
	v_ldexp_f64 v[6:7], v[2:3], 0xffffffe0
	v_floor_f64_e32 v[6:7], v[6:7]
	v_fma_f64 v[2:3], 0xc1f00000, v[6:7], v[2:3]
	v_cvt_u32_f64_e32 v7, v[6:7]
	v_cvt_u32_f64_e32 v6, v[2:3]
	global_store_dwordx2 v[4:5], v[6:7], off
	s_branch .LBB8_47
.LBB8_46:
	s_mov_b32 s18, 0
.LBB8_47:
	s_and_b32 vcc_lo, exec_lo, s18
	s_cbranch_vccz .LBB8_63
; %bb.48:
	s_cmp_lt_i32 s16, 27
	s_mov_b32 s17, -1
	s_cbranch_scc1 .LBB8_54
; %bb.49:
	v_cvt_u32_f64_e32 v2, v[0:1]
	s_cmp_gt_i32 s16, 27
	s_cbranch_scc0 .LBB8_51
; %bb.50:
	s_mov_b32 s17, 0
	global_store_dword v[4:5], v2, off
.LBB8_51:
	s_andn2_b32 vcc_lo, exec_lo, s17
	s_cbranch_vccnz .LBB8_53
; %bb.52:
	global_store_short v[4:5], v2, off
.LBB8_53:
	s_mov_b32 s17, 0
.LBB8_54:
	s_andn2_b32 vcc_lo, exec_lo, s17
	s_cbranch_vccnz .LBB8_62
; %bb.55:
	v_cvt_f32_f64_e32 v2, v[0:1]
	v_mov_b32_e32 v6, 0x80
	s_mov_b32 s17, exec_lo
	v_and_b32_e32 v3, 0x7fffffff, v2
	v_cmpx_gt_u32_e32 0x43800000, v3
	s_cbranch_execz .LBB8_61
; %bb.56:
	v_cmp_lt_u32_e32 vcc_lo, 0x3bffffff, v3
	s_mov_b32 s18, 0
                                        ; implicit-def: $vgpr3
	s_and_saveexec_b32 s19, vcc_lo
	s_xor_b32 s19, exec_lo, s19
	s_cbranch_execz .LBB8_287
; %bb.57:
	v_bfe_u32 v3, v2, 20, 1
	s_mov_b32 s18, exec_lo
	v_add3_u32 v3, v2, v3, 0x487ffff
	v_lshrrev_b32_e32 v3, 20, v3
	s_andn2_saveexec_b32 s19, s19
	s_cbranch_execnz .LBB8_288
.LBB8_58:
	s_or_b32 exec_lo, exec_lo, s19
	v_mov_b32_e32 v6, 0
	s_and_saveexec_b32 s19, s18
.LBB8_59:
	v_lshrrev_b32_e32 v2, 24, v2
	v_and_or_b32 v6, 0x80, v2, v3
.LBB8_60:
	s_or_b32 exec_lo, exec_lo, s19
.LBB8_61:
	s_or_b32 exec_lo, exec_lo, s17
	global_store_byte v[4:5], v6, off
.LBB8_62:
	s_mov_b32 s17, -1
.LBB8_63:
	s_mov_b32 s18, 0
.LBB8_64:
	s_and_b32 vcc_lo, exec_lo, s18
	s_cbranch_vccz .LBB8_105
; %bb.65:
	s_cmp_gt_i32 s16, 22
	s_mov_b32 s18, -1
	s_cbranch_scc0 .LBB8_97
; %bb.66:
	s_cmp_lt_i32 s16, 24
	s_mov_b32 s17, -1
	s_cbranch_scc1 .LBB8_86
; %bb.67:
	s_cmp_gt_i32 s16, 24
	s_cbranch_scc0 .LBB8_75
; %bb.68:
	v_cvt_f32_f64_e32 v2, v[0:1]
	v_mov_b32_e32 v6, 0x80
	s_mov_b32 s17, exec_lo
	v_and_b32_e32 v3, 0x7fffffff, v2
	v_cmpx_gt_u32_e32 0x47800000, v3
	s_cbranch_execz .LBB8_74
; %bb.69:
	v_cmp_lt_u32_e32 vcc_lo, 0x37ffffff, v3
	s_mov_b32 s18, 0
                                        ; implicit-def: $vgpr3
	s_and_saveexec_b32 s19, vcc_lo
	s_xor_b32 s19, exec_lo, s19
	s_cbranch_execz .LBB8_291
; %bb.70:
	v_bfe_u32 v3, v2, 21, 1
	s_mov_b32 s18, exec_lo
	v_add3_u32 v3, v2, v3, 0x88fffff
	v_lshrrev_b32_e32 v3, 21, v3
	s_andn2_saveexec_b32 s19, s19
	s_cbranch_execnz .LBB8_292
.LBB8_71:
	s_or_b32 exec_lo, exec_lo, s19
	v_mov_b32_e32 v6, 0
	s_and_saveexec_b32 s19, s18
.LBB8_72:
	v_lshrrev_b32_e32 v2, 24, v2
	v_and_or_b32 v6, 0x80, v2, v3
.LBB8_73:
	s_or_b32 exec_lo, exec_lo, s19
.LBB8_74:
	s_or_b32 exec_lo, exec_lo, s17
	s_mov_b32 s17, 0
	global_store_byte v[4:5], v6, off
.LBB8_75:
	s_and_b32 vcc_lo, exec_lo, s17
	s_cbranch_vccz .LBB8_85
; %bb.76:
	v_cvt_f32_f64_e32 v2, v[0:1]
	s_mov_b32 s17, exec_lo
                                        ; implicit-def: $vgpr3
	v_and_b32_e32 v6, 0x7fffffff, v2
	v_cmpx_gt_u32_e32 0x43f00000, v6
	s_xor_b32 s17, exec_lo, s17
	s_cbranch_execz .LBB8_82
; %bb.77:
	s_mov_b32 s18, exec_lo
                                        ; implicit-def: $vgpr3
	v_cmpx_lt_u32_e32 0x3c7fffff, v6
	s_xor_b32 s18, exec_lo, s18
; %bb.78:
	v_bfe_u32 v3, v2, 20, 1
	v_add3_u32 v3, v2, v3, 0x407ffff
	v_and_b32_e32 v6, 0xff00000, v3
	v_lshrrev_b32_e32 v3, 20, v3
	v_cmp_ne_u32_e32 vcc_lo, 0x7f00000, v6
	v_cndmask_b32_e32 v3, 0x7e, v3, vcc_lo
; %bb.79:
	s_andn2_saveexec_b32 s18, s18
; %bb.80:
	v_add_f32_e64 v3, 0x46800000, |v2|
; %bb.81:
	s_or_b32 exec_lo, exec_lo, s18
                                        ; implicit-def: $vgpr6
.LBB8_82:
	s_andn2_saveexec_b32 s17, s17
; %bb.83:
	v_mov_b32_e32 v3, 0x7f
	v_cmp_lt_u32_e32 vcc_lo, 0x7f800000, v6
	v_cndmask_b32_e32 v3, 0x7e, v3, vcc_lo
; %bb.84:
	s_or_b32 exec_lo, exec_lo, s17
	v_lshrrev_b32_e32 v2, 24, v2
	v_and_or_b32 v2, 0x80, v2, v3
	global_store_byte v[4:5], v2, off
.LBB8_85:
	s_mov_b32 s17, 0
.LBB8_86:
	s_andn2_b32 vcc_lo, exec_lo, s17
	s_cbranch_vccnz .LBB8_96
; %bb.87:
	v_cvt_f32_f64_e32 v2, v[0:1]
	s_mov_b32 s17, exec_lo
                                        ; implicit-def: $vgpr3
	v_and_b32_e32 v6, 0x7fffffff, v2
	v_cmpx_gt_u32_e32 0x47800000, v6
	s_xor_b32 s17, exec_lo, s17
	s_cbranch_execz .LBB8_93
; %bb.88:
	s_mov_b32 s18, exec_lo
                                        ; implicit-def: $vgpr3
	v_cmpx_lt_u32_e32 0x387fffff, v6
	s_xor_b32 s18, exec_lo, s18
; %bb.89:
	v_bfe_u32 v3, v2, 21, 1
	v_add3_u32 v3, v2, v3, 0x80fffff
	v_lshrrev_b32_e32 v3, 21, v3
; %bb.90:
	s_andn2_saveexec_b32 s18, s18
; %bb.91:
	v_add_f32_e64 v3, 0x43000000, |v2|
; %bb.92:
	s_or_b32 exec_lo, exec_lo, s18
                                        ; implicit-def: $vgpr6
.LBB8_93:
	s_andn2_saveexec_b32 s17, s17
; %bb.94:
	v_mov_b32_e32 v3, 0x7f
	v_cmp_lt_u32_e32 vcc_lo, 0x7f800000, v6
	v_cndmask_b32_e32 v3, 0x7c, v3, vcc_lo
; %bb.95:
	s_or_b32 exec_lo, exec_lo, s17
	v_lshrrev_b32_e32 v2, 24, v2
	v_and_or_b32 v2, 0x80, v2, v3
	global_store_byte v[4:5], v2, off
.LBB8_96:
	s_mov_b32 s18, 0
	s_mov_b32 s17, -1
.LBB8_97:
	s_andn2_b32 vcc_lo, exec_lo, s18
	s_cbranch_vccnz .LBB8_105
; %bb.98:
	s_cmp_gt_i32 s16, 14
	s_mov_b32 s18, -1
	s_cbranch_scc0 .LBB8_102
; %bb.99:
	s_cmp_eq_u32 s16, 15
	s_mov_b32 s0, -1
	s_cbranch_scc0 .LBB8_101
; %bb.100:
	v_cvt_f32_f64_e32 v2, v[0:1]
	s_mov_b32 s17, -1
	s_mov_b32 s0, 0
	v_bfe_u32 v3, v2, 16, 1
	v_cmp_o_f32_e32 vcc_lo, v2, v2
	v_add3_u32 v2, v2, v3, 0x7fff
	v_mov_b32_e32 v3, 0x7fc0
	v_cndmask_b32_sdwa v2, v3, v2, vcc_lo dst_sel:DWORD dst_unused:UNUSED_PAD src0_sel:DWORD src1_sel:WORD_1
	global_store_short v[4:5], v2, off
.LBB8_101:
	s_mov_b32 s18, 0
.LBB8_102:
	s_and_b32 vcc_lo, exec_lo, s18
	s_cbranch_vccz .LBB8_105
; %bb.103:
	s_cmp_eq_u32 s16, 11
	s_mov_b32 s0, -1
	s_cbranch_scc0 .LBB8_105
; %bb.104:
	v_cmp_neq_f64_e32 vcc_lo, 0, v[0:1]
	s_mov_b32 s17, -1
	s_mov_b32 s0, 0
	v_cndmask_b32_e64 v2, 0, 1, vcc_lo
	global_store_byte v[4:5], v2, off
.LBB8_105:
	s_branch .LBB8_24
.LBB8_106:
	s_and_b32 s7, 0xffff, s7
	s_mov_b32 s16, -1
	s_cmp_lt_i32 s7, 5
	s_cbranch_scc1 .LBB8_127
; %bb.107:
	s_cmp_lt_i32 s7, 8
	s_cbranch_scc1 .LBB8_117
; %bb.108:
	;; [unrolled: 3-line block ×3, first 2 shown]
	s_cmp_gt_i32 s7, 9
	s_cbranch_scc0 .LBB8_111
; %bb.110:
	v_mov_b32_e32 v2, 0
	s_mov_b32 s16, 0
	v_mov_b32_e32 v3, v2
	global_store_dwordx4 v[4:5], v[0:3], off
.LBB8_111:
	s_andn2_b32 vcc_lo, exec_lo, s16
	s_cbranch_vccnz .LBB8_113
; %bb.112:
	v_cvt_f32_f64_e32 v2, v[0:1]
	v_mov_b32_e32 v3, 0
	global_store_dwordx2 v[4:5], v[2:3], off
.LBB8_113:
	s_mov_b32 s16, 0
.LBB8_114:
	s_andn2_b32 vcc_lo, exec_lo, s16
	s_cbranch_vccnz .LBB8_116
; %bb.115:
	v_and_or_b32 v2, 0x1ff, v1, v0
	v_lshrrev_b32_e32 v3, 8, v1
	v_bfe_u32 v6, v1, 20, 11
	v_cmp_ne_u32_e32 vcc_lo, 0, v2
	v_sub_nc_u32_e32 v7, 0x3f1, v6
	v_add_nc_u32_e32 v6, 0xfffffc10, v6
	v_cndmask_b32_e64 v2, 0, 1, vcc_lo
	v_and_or_b32 v2, 0xffe, v3, v2
	v_med3_i32 v3, v7, 0, 13
	v_or_b32_e32 v7, 0x1000, v2
	v_lshrrev_b32_e32 v8, v3, v7
	v_lshlrev_b32_e32 v3, v3, v8
	v_cmp_ne_u32_e32 vcc_lo, v3, v7
	v_lshl_or_b32 v7, v6, 12, v2
	v_cndmask_b32_e64 v3, 0, 1, vcc_lo
	v_cmp_gt_i32_e32 vcc_lo, 1, v6
	v_or_b32_e32 v3, v8, v3
	v_cndmask_b32_e32 v3, v7, v3, vcc_lo
	v_and_b32_e32 v7, 7, v3
	v_lshrrev_b32_e32 v3, 2, v3
	v_cmp_lt_i32_e32 vcc_lo, 5, v7
	v_cndmask_b32_e64 v8, 0, 1, vcc_lo
	v_cmp_eq_u32_e32 vcc_lo, 3, v7
	v_cndmask_b32_e64 v7, 0, 1, vcc_lo
	v_cmp_ne_u32_e32 vcc_lo, 0, v2
	v_or_b32_e32 v7, v7, v8
	v_mov_b32_e32 v8, 0x7e00
	v_add_nc_u32_e32 v3, v3, v7
	v_cndmask_b32_e32 v2, 0x7c00, v8, vcc_lo
	v_cmp_gt_i32_e32 vcc_lo, 31, v6
	v_cndmask_b32_e32 v3, 0x7c00, v3, vcc_lo
	v_cmp_eq_u32_e32 vcc_lo, 0x40f, v6
	v_cndmask_b32_e32 v2, v3, v2, vcc_lo
	v_lshrrev_b32_e32 v3, 16, v1
	v_and_or_b32 v2, 0x8000, v3, v2
	v_and_b32_e32 v2, 0xffff, v2
	global_store_dword v[4:5], v2, off
.LBB8_116:
	s_mov_b32 s16, 0
.LBB8_117:
	s_andn2_b32 vcc_lo, exec_lo, s16
	s_cbranch_vccnz .LBB8_126
; %bb.118:
	s_cmp_lt_i32 s7, 6
	s_mov_b32 s16, -1
	s_cbranch_scc1 .LBB8_124
; %bb.119:
	s_cmp_gt_i32 s7, 6
	s_cbranch_scc0 .LBB8_121
; %bb.120:
	s_mov_b32 s16, 0
	global_store_dwordx2 v[4:5], v[0:1], off
.LBB8_121:
	s_andn2_b32 vcc_lo, exec_lo, s16
	s_cbranch_vccnz .LBB8_123
; %bb.122:
	v_cvt_f32_f64_e32 v2, v[0:1]
	global_store_dword v[4:5], v2, off
.LBB8_123:
	s_mov_b32 s16, 0
.LBB8_124:
	s_andn2_b32 vcc_lo, exec_lo, s16
	s_cbranch_vccnz .LBB8_126
; %bb.125:
	v_and_or_b32 v2, 0x1ff, v1, v0
	v_lshrrev_b32_e32 v3, 8, v1
	v_bfe_u32 v6, v1, 20, 11
	v_cmp_ne_u32_e32 vcc_lo, 0, v2
	v_sub_nc_u32_e32 v7, 0x3f1, v6
	v_add_nc_u32_e32 v6, 0xfffffc10, v6
	v_cndmask_b32_e64 v2, 0, 1, vcc_lo
	v_and_or_b32 v2, 0xffe, v3, v2
	v_med3_i32 v3, v7, 0, 13
	v_or_b32_e32 v7, 0x1000, v2
	v_lshrrev_b32_e32 v8, v3, v7
	v_lshlrev_b32_e32 v3, v3, v8
	v_cmp_ne_u32_e32 vcc_lo, v3, v7
	v_lshl_or_b32 v7, v6, 12, v2
	v_cndmask_b32_e64 v3, 0, 1, vcc_lo
	v_cmp_gt_i32_e32 vcc_lo, 1, v6
	v_or_b32_e32 v3, v8, v3
	v_cndmask_b32_e32 v3, v7, v3, vcc_lo
	v_and_b32_e32 v7, 7, v3
	v_lshrrev_b32_e32 v3, 2, v3
	v_cmp_lt_i32_e32 vcc_lo, 5, v7
	v_cndmask_b32_e64 v8, 0, 1, vcc_lo
	v_cmp_eq_u32_e32 vcc_lo, 3, v7
	v_cndmask_b32_e64 v7, 0, 1, vcc_lo
	v_cmp_ne_u32_e32 vcc_lo, 0, v2
	v_or_b32_e32 v7, v7, v8
	v_mov_b32_e32 v8, 0x7e00
	v_add_nc_u32_e32 v3, v3, v7
	v_cndmask_b32_e32 v2, 0x7c00, v8, vcc_lo
	v_cmp_gt_i32_e32 vcc_lo, 31, v6
	v_cndmask_b32_e32 v3, 0x7c00, v3, vcc_lo
	v_cmp_eq_u32_e32 vcc_lo, 0x40f, v6
	v_cndmask_b32_e32 v2, v3, v2, vcc_lo
	v_lshrrev_b32_e32 v3, 16, v1
	v_and_or_b32 v2, 0x8000, v3, v2
	global_store_short v[4:5], v2, off
.LBB8_126:
	s_mov_b32 s16, 0
.LBB8_127:
	s_andn2_b32 vcc_lo, exec_lo, s16
	s_cbranch_vccnz .LBB8_143
; %bb.128:
	s_cmp_lt_i32 s7, 2
	s_mov_b32 s16, -1
	s_cbranch_scc1 .LBB8_138
; %bb.129:
	s_cmp_lt_i32 s7, 3
	s_cbranch_scc1 .LBB8_135
; %bb.130:
	s_cmp_gt_i32 s7, 3
	s_cbranch_scc0 .LBB8_132
; %bb.131:
	v_trunc_f64_e32 v[2:3], v[0:1]
	s_mov_b32 s16, 0
	v_ldexp_f64 v[6:7], v[2:3], 0xffffffe0
	v_floor_f64_e32 v[6:7], v[6:7]
	v_fma_f64 v[2:3], 0xc1f00000, v[6:7], v[2:3]
	v_cvt_i32_f64_e32 v7, v[6:7]
	v_cvt_u32_f64_e32 v6, v[2:3]
	global_store_dwordx2 v[4:5], v[6:7], off
.LBB8_132:
	s_andn2_b32 vcc_lo, exec_lo, s16
	s_cbranch_vccnz .LBB8_134
; %bb.133:
	v_cvt_i32_f64_e32 v2, v[0:1]
	global_store_dword v[4:5], v2, off
.LBB8_134:
	s_mov_b32 s16, 0
.LBB8_135:
	s_andn2_b32 vcc_lo, exec_lo, s16
	s_cbranch_vccnz .LBB8_137
; %bb.136:
	v_cvt_i32_f64_e32 v2, v[0:1]
	global_store_short v[4:5], v2, off
.LBB8_137:
	s_mov_b32 s16, 0
.LBB8_138:
	s_andn2_b32 vcc_lo, exec_lo, s16
	s_cbranch_vccnz .LBB8_143
; %bb.139:
	s_cmp_gt_i32 s7, 0
	s_mov_b32 s7, -1
	s_cbranch_scc0 .LBB8_141
; %bb.140:
	v_cvt_i32_f64_e32 v2, v[0:1]
	s_mov_b32 s7, 0
	global_store_byte v[4:5], v2, off
.LBB8_141:
	s_andn2_b32 vcc_lo, exec_lo, s7
	s_cbranch_vccnz .LBB8_143
; %bb.142:
	v_trunc_f64_e32 v[0:1], v[0:1]
	v_ldexp_f64 v[2:3], v[0:1], 0xffffffe0
	v_floor_f64_e32 v[2:3], v[2:3]
	v_fma_f64 v[0:1], 0xc1f00000, v[2:3], v[0:1]
	v_cvt_u32_f64_e32 v0, v[0:1]
	global_store_byte v[4:5], v0, off
.LBB8_143:
.LBB8_144:
	v_add_nc_u32_e32 v10, 0x80, v10
	s_mov_b32 s16, -1
	s_branch .LBB8_255
.LBB8_145:
	s_mov_b32 s13, -1
                                        ; implicit-def: $vgpr2_vgpr3
.LBB8_146:
	s_mov_b32 s16, 0
.LBB8_147:
	s_and_b32 vcc_lo, exec_lo, s16
	s_cbranch_vccz .LBB8_151
; %bb.148:
	s_cmp_eq_u32 s0, 29
	s_cbranch_scc0 .LBB8_150
; %bb.149:
	global_load_dwordx2 v[2:3], v[0:1], off
	s_mov_b32 s7, -1
	s_mov_b32 s13, 0
	s_mov_b32 s16, 0
	s_waitcnt vmcnt(0)
	v_cvt_f64_u32_e32 v[3:4], v3
	v_cvt_f64_u32_e32 v[5:6], v2
	v_ldexp_f64 v[3:4], v[3:4], 32
	v_add_f64 v[2:3], v[3:4], v[5:6]
	s_branch .LBB8_152
.LBB8_150:
	s_mov_b32 s13, -1
                                        ; implicit-def: $vgpr2_vgpr3
.LBB8_151:
	s_mov_b32 s16, 0
.LBB8_152:
	s_and_b32 vcc_lo, exec_lo, s16
	s_cbranch_vccz .LBB8_172
; %bb.153:
	s_cmp_lt_i32 s0, 27
	s_cbranch_scc1 .LBB8_156
; %bb.154:
	s_cmp_gt_i32 s0, 27
	s_cbranch_scc0 .LBB8_157
; %bb.155:
	global_load_dword v2, v[0:1], off
	s_mov_b32 s7, 0
	s_waitcnt vmcnt(0)
	v_cvt_f64_u32_e32 v[2:3], v2
	s_branch .LBB8_158
.LBB8_156:
	s_mov_b32 s7, -1
                                        ; implicit-def: $vgpr2_vgpr3
	s_branch .LBB8_161
.LBB8_157:
	s_mov_b32 s7, -1
                                        ; implicit-def: $vgpr2_vgpr3
.LBB8_158:
	s_andn2_b32 vcc_lo, exec_lo, s7
	s_cbranch_vccnz .LBB8_160
; %bb.159:
	global_load_ushort v2, v[0:1], off
	s_waitcnt vmcnt(0)
	v_cvt_f64_u32_e32 v[2:3], v2
.LBB8_160:
	s_mov_b32 s7, 0
.LBB8_161:
	s_andn2_b32 vcc_lo, exec_lo, s7
	s_cbranch_vccnz .LBB8_171
; %bb.162:
	global_load_ubyte v4, v[0:1], off
	s_mov_b32 s7, 0
	s_mov_b32 s16, exec_lo
	s_waitcnt vmcnt(0)
	v_cmpx_lt_i16_e32 0x7f, v4
	s_xor_b32 s16, exec_lo, s16
	s_cbranch_execz .LBB8_166
; %bb.163:
	s_mov_b32 s7, -1
	s_mov_b32 s17, exec_lo
	v_cmpx_eq_u16_e32 0x80, v4
; %bb.164:
	s_xor_b32 s7, exec_lo, -1
; %bb.165:
	s_or_b32 exec_lo, exec_lo, s17
	s_and_b32 s7, s7, exec_lo
.LBB8_166:
	s_or_saveexec_b32 s16, s16
	v_bfrev_b32_e32 v2, 4
	v_mov_b32_e32 v3, 0x7ff80000
	s_xor_b32 exec_lo, exec_lo, s16
; %bb.167:
	v_cmp_ne_u16_e32 vcc_lo, 0, v4
	v_mov_b32_e32 v2, 0
	v_mov_b32_e32 v3, 0
	s_andn2_b32 s7, s7, exec_lo
	s_and_b32 s17, vcc_lo, exec_lo
	s_or_b32 s7, s7, s17
; %bb.168:
	s_or_b32 exec_lo, exec_lo, s16
	s_and_saveexec_b32 s16, s7
	s_cbranch_execz .LBB8_170
; %bb.169:
	v_and_b32_e32 v2, 0xffff, v4
	v_lshlrev_b32_e32 v4, 24, v4
	v_and_b32_e32 v3, 7, v2
	v_bfe_u32 v7, v2, 3, 4
	v_ffbh_u32_e32 v5, v3
	v_cmp_eq_u32_e32 vcc_lo, 0, v7
	v_min_u32_e32 v5, 32, v5
	v_subrev_nc_u32_e32 v6, 28, v5
	v_sub_nc_u32_e32 v5, 29, v5
	v_lshlrev_b32_e32 v2, v6, v2
	v_cndmask_b32_e32 v5, v7, v5, vcc_lo
	v_and_b32_e32 v2, 7, v2
	v_cndmask_b32_e32 v2, v3, v2, vcc_lo
	v_and_b32_e32 v3, 0x80000000, v4
	v_lshl_add_u32 v4, v5, 23, 0x3b800000
	v_lshlrev_b32_e32 v2, 20, v2
	v_or3_b32 v2, v3, v4, v2
	v_cvt_f64_f32_e32 v[2:3], v2
.LBB8_170:
	s_or_b32 exec_lo, exec_lo, s16
.LBB8_171:
	s_mov_b32 s7, -1
.LBB8_172:
	s_branch .LBB8_205
.LBB8_173:
	s_cmp_gt_i32 s0, 22
	s_cbranch_scc0 .LBB8_185
; %bb.174:
	s_cmp_lt_i32 s0, 24
	s_cbranch_scc1 .LBB8_186
; %bb.175:
	s_cmp_gt_i32 s0, 24
	s_cbranch_scc0 .LBB8_187
; %bb.176:
	global_load_ubyte v4, v[0:1], off
	s_mov_b32 s7, 0
	s_mov_b32 s16, exec_lo
	s_waitcnt vmcnt(0)
	v_cmpx_lt_i16_e32 0x7f, v4
	s_xor_b32 s16, exec_lo, s16
	s_cbranch_execz .LBB8_180
; %bb.177:
	s_mov_b32 s7, -1
	s_mov_b32 s17, exec_lo
	v_cmpx_eq_u16_e32 0x80, v4
; %bb.178:
	s_xor_b32 s7, exec_lo, -1
; %bb.179:
	s_or_b32 exec_lo, exec_lo, s17
	s_and_b32 s7, s7, exec_lo
.LBB8_180:
	s_or_saveexec_b32 s16, s16
	v_bfrev_b32_e32 v2, 4
	v_mov_b32_e32 v3, 0x7ff80000
	s_xor_b32 exec_lo, exec_lo, s16
; %bb.181:
	v_cmp_ne_u16_e32 vcc_lo, 0, v4
	v_mov_b32_e32 v2, 0
	v_mov_b32_e32 v3, 0
	s_andn2_b32 s7, s7, exec_lo
	s_and_b32 s17, vcc_lo, exec_lo
	s_or_b32 s7, s7, s17
; %bb.182:
	s_or_b32 exec_lo, exec_lo, s16
	s_and_saveexec_b32 s16, s7
	s_cbranch_execz .LBB8_184
; %bb.183:
	v_and_b32_e32 v2, 0xffff, v4
	v_lshlrev_b32_e32 v4, 24, v4
	v_and_b32_e32 v3, 3, v2
	v_bfe_u32 v7, v2, 2, 5
	v_ffbh_u32_e32 v5, v3
	v_cmp_eq_u32_e32 vcc_lo, 0, v7
	v_min_u32_e32 v5, 32, v5
	v_subrev_nc_u32_e32 v6, 29, v5
	v_sub_nc_u32_e32 v5, 30, v5
	v_lshlrev_b32_e32 v2, v6, v2
	v_cndmask_b32_e32 v5, v7, v5, vcc_lo
	v_and_b32_e32 v2, 3, v2
	v_cndmask_b32_e32 v2, v3, v2, vcc_lo
	v_and_b32_e32 v3, 0x80000000, v4
	v_lshl_add_u32 v4, v5, 23, 0x37800000
	v_lshlrev_b32_e32 v2, 21, v2
	v_or3_b32 v2, v3, v4, v2
	v_cvt_f64_f32_e32 v[2:3], v2
.LBB8_184:
	s_or_b32 exec_lo, exec_lo, s16
	s_mov_b32 s7, 0
	s_branch .LBB8_188
.LBB8_185:
	s_mov_b32 s16, -1
                                        ; implicit-def: $vgpr2_vgpr3
	s_branch .LBB8_194
.LBB8_186:
	s_mov_b32 s7, -1
                                        ; implicit-def: $vgpr2_vgpr3
	s_branch .LBB8_191
.LBB8_187:
	s_mov_b32 s7, -1
                                        ; implicit-def: $vgpr2_vgpr3
.LBB8_188:
	s_and_b32 vcc_lo, exec_lo, s7
	s_cbranch_vccz .LBB8_190
; %bb.189:
	global_load_ubyte v2, v[0:1], off
	s_waitcnt vmcnt(0)
	v_lshlrev_b32_e32 v2, 24, v2
	v_and_b32_e32 v3, 0x7f000000, v2
	v_ffbh_u32_e32 v4, v3
	v_add_nc_u32_e32 v6, 0x1000000, v3
	v_cmp_ne_u32_e32 vcc_lo, 0, v3
	v_min_u32_e32 v4, 32, v4
	v_sub_nc_u32_e64 v4, v4, 4 clamp
	v_lshlrev_b32_e32 v5, v4, v3
	v_lshlrev_b32_e32 v4, 23, v4
	v_lshrrev_b32_e32 v5, 4, v5
	v_sub_nc_u32_e32 v4, v5, v4
	v_ashrrev_i32_e32 v5, 8, v6
	v_add_nc_u32_e32 v4, 0x3c000000, v4
	v_and_or_b32 v4, 0x7f800000, v5, v4
	v_cndmask_b32_e32 v3, 0, v4, vcc_lo
	v_and_or_b32 v2, 0x80000000, v2, v3
	v_cvt_f64_f32_e32 v[2:3], v2
.LBB8_190:
	s_mov_b32 s7, 0
.LBB8_191:
	s_andn2_b32 vcc_lo, exec_lo, s7
	s_cbranch_vccnz .LBB8_193
; %bb.192:
	global_load_ubyte v2, v[0:1], off
	s_waitcnt vmcnt(0)
	v_lshlrev_b32_e32 v3, 25, v2
	v_lshlrev_b16 v2, 8, v2
	v_lshrrev_b32_e32 v4, 4, v3
	v_and_or_b32 v5, 0x7f00, v2, 0.5
	v_cmp_gt_u32_e32 vcc_lo, 0x8000000, v3
	v_bfe_i32 v2, v2, 0, 16
	v_or_b32_e32 v4, 0x70000000, v4
	v_add_f32_e32 v5, -0.5, v5
	v_mul_f32_e32 v4, 0x7800000, v4
	v_cndmask_b32_e32 v3, v4, v5, vcc_lo
	v_and_or_b32 v2, 0x80000000, v2, v3
	v_cvt_f64_f32_e32 v[2:3], v2
.LBB8_193:
	s_mov_b32 s16, 0
	s_mov_b32 s7, -1
.LBB8_194:
	s_andn2_b32 vcc_lo, exec_lo, s16
	s_cbranch_vccnz .LBB8_205
; %bb.195:
	s_cmp_gt_i32 s0, 14
	s_cbranch_scc0 .LBB8_198
; %bb.196:
	s_cmp_eq_u32 s0, 15
	s_cbranch_scc0 .LBB8_199
; %bb.197:
	global_load_ushort v2, v[0:1], off
	s_mov_b32 s7, -1
	s_mov_b32 s13, 0
	s_waitcnt vmcnt(0)
	v_lshlrev_b32_e32 v2, 16, v2
	v_cvt_f64_f32_e32 v[2:3], v2
	s_branch .LBB8_200
.LBB8_198:
	s_mov_b32 s16, -1
                                        ; implicit-def: $vgpr2_vgpr3
	s_branch .LBB8_201
.LBB8_199:
	s_mov_b32 s13, -1
                                        ; implicit-def: $vgpr2_vgpr3
.LBB8_200:
	s_mov_b32 s16, 0
.LBB8_201:
	s_and_b32 vcc_lo, exec_lo, s16
	s_cbranch_vccz .LBB8_205
; %bb.202:
	s_cmp_eq_u32 s0, 11
	s_cbranch_scc0 .LBB8_204
; %bb.203:
	global_load_ubyte v2, v[0:1], off
	s_mov_b32 s13, 0
	s_mov_b32 s7, -1
	s_waitcnt vmcnt(0)
	v_cmp_ne_u16_e32 vcc_lo, 0, v2
	v_mov_b32_e32 v2, 0
	v_cndmask_b32_e64 v3, 0, 0x3ff00000, vcc_lo
	s_branch .LBB8_205
.LBB8_204:
	s_mov_b32 s13, -1
                                        ; implicit-def: $vgpr2_vgpr3
.LBB8_205:
	s_branch .LBB8_10
.LBB8_206:
	s_cmp_lt_i32 s0, 5
	s_cbranch_scc1 .LBB8_211
; %bb.207:
	s_cmp_lt_i32 s0, 8
	s_cbranch_scc1 .LBB8_212
; %bb.208:
	;; [unrolled: 3-line block ×3, first 2 shown]
	s_cmp_gt_i32 s0, 9
	s_cbranch_scc0 .LBB8_214
; %bb.210:
	global_load_dwordx2 v[2:3], v[0:1], off
	s_mov_b32 s7, 0
	s_branch .LBB8_215
.LBB8_211:
                                        ; implicit-def: $vgpr2_vgpr3
	s_branch .LBB8_233
.LBB8_212:
	s_mov_b32 s7, -1
                                        ; implicit-def: $vgpr2_vgpr3
	s_branch .LBB8_221
.LBB8_213:
	s_mov_b32 s7, -1
                                        ; implicit-def: $vgpr2_vgpr3
	s_branch .LBB8_218
.LBB8_214:
	s_mov_b32 s7, -1
                                        ; implicit-def: $vgpr2_vgpr3
.LBB8_215:
	s_andn2_b32 vcc_lo, exec_lo, s7
	s_cbranch_vccnz .LBB8_217
; %bb.216:
	global_load_dword v2, v[0:1], off
	s_waitcnt vmcnt(0)
	v_cvt_f64_f32_e32 v[2:3], v2
.LBB8_217:
	s_mov_b32 s7, 0
.LBB8_218:
	s_andn2_b32 vcc_lo, exec_lo, s7
	s_cbranch_vccnz .LBB8_220
; %bb.219:
	global_load_dword v2, v[0:1], off
	s_waitcnt vmcnt(0)
	v_cvt_f32_f16_e32 v2, v2
	v_cvt_f64_f32_e32 v[2:3], v2
.LBB8_220:
	s_mov_b32 s7, 0
.LBB8_221:
	s_andn2_b32 vcc_lo, exec_lo, s7
	s_cbranch_vccnz .LBB8_232
; %bb.222:
	s_cmp_lt_i32 s0, 6
	s_cbranch_scc1 .LBB8_225
; %bb.223:
	s_cmp_gt_i32 s0, 6
	s_cbranch_scc0 .LBB8_226
; %bb.224:
	global_load_dwordx2 v[2:3], v[0:1], off
	s_mov_b32 s7, 0
	s_branch .LBB8_227
.LBB8_225:
	s_mov_b32 s7, -1
                                        ; implicit-def: $vgpr2_vgpr3
	s_branch .LBB8_230
.LBB8_226:
	s_mov_b32 s7, -1
                                        ; implicit-def: $vgpr2_vgpr3
.LBB8_227:
	s_andn2_b32 vcc_lo, exec_lo, s7
	s_cbranch_vccnz .LBB8_229
; %bb.228:
	global_load_dword v2, v[0:1], off
	s_waitcnt vmcnt(0)
	v_cvt_f64_f32_e32 v[2:3], v2
.LBB8_229:
	s_mov_b32 s7, 0
.LBB8_230:
	s_andn2_b32 vcc_lo, exec_lo, s7
	s_cbranch_vccnz .LBB8_232
; %bb.231:
	global_load_ushort v2, v[0:1], off
	s_waitcnt vmcnt(0)
	v_cvt_f32_f16_e32 v2, v2
	v_cvt_f64_f32_e32 v[2:3], v2
.LBB8_232:
	s_cbranch_execnz .LBB8_252
.LBB8_233:
	s_cmp_lt_i32 s0, 2
	s_cbranch_scc1 .LBB8_237
; %bb.234:
	s_cmp_lt_i32 s0, 3
	s_cbranch_scc1 .LBB8_238
; %bb.235:
	s_cmp_gt_i32 s0, 3
	s_cbranch_scc0 .LBB8_239
; %bb.236:
	global_load_dwordx2 v[2:3], v[0:1], off
	s_mov_b32 s7, 0
	s_waitcnt vmcnt(0)
	v_cvt_f64_i32_e32 v[3:4], v3
	v_cvt_f64_u32_e32 v[5:6], v2
	v_ldexp_f64 v[3:4], v[3:4], 32
	v_add_f64 v[2:3], v[3:4], v[5:6]
	s_branch .LBB8_240
.LBB8_237:
	s_mov_b32 s7, -1
                                        ; implicit-def: $vgpr2_vgpr3
	s_branch .LBB8_246
.LBB8_238:
	s_mov_b32 s7, -1
                                        ; implicit-def: $vgpr2_vgpr3
	s_branch .LBB8_243
.LBB8_239:
	s_mov_b32 s7, -1
                                        ; implicit-def: $vgpr2_vgpr3
.LBB8_240:
	s_andn2_b32 vcc_lo, exec_lo, s7
	s_cbranch_vccnz .LBB8_242
; %bb.241:
	global_load_dword v2, v[0:1], off
	s_waitcnt vmcnt(0)
	v_cvt_f64_i32_e32 v[2:3], v2
.LBB8_242:
	s_mov_b32 s7, 0
.LBB8_243:
	s_andn2_b32 vcc_lo, exec_lo, s7
	s_cbranch_vccnz .LBB8_245
; %bb.244:
	global_load_sshort v2, v[0:1], off
	s_waitcnt vmcnt(0)
	v_cvt_f64_i32_e32 v[2:3], v2
.LBB8_245:
	s_mov_b32 s7, 0
.LBB8_246:
	s_andn2_b32 vcc_lo, exec_lo, s7
	s_cbranch_vccnz .LBB8_252
; %bb.247:
	s_cmp_gt_i32 s0, 0
	s_mov_b32 s0, 0
	s_cbranch_scc0 .LBB8_249
; %bb.248:
	global_load_sbyte v2, v[0:1], off
	s_waitcnt vmcnt(0)
	v_cvt_f64_i32_e32 v[2:3], v2
	s_branch .LBB8_250
.LBB8_249:
	s_mov_b32 s0, -1
                                        ; implicit-def: $vgpr2_vgpr3
.LBB8_250:
	s_andn2_b32 vcc_lo, exec_lo, s0
	s_cbranch_vccnz .LBB8_252
; %bb.251:
	global_load_ubyte v0, v[0:1], off
	s_waitcnt vmcnt(0)
	v_cvt_f64_u32_e32 v[2:3], v0
.LBB8_252:
	s_branch .LBB8_11
.LBB8_253:
	s_mov_b32 s0, 0
.LBB8_254:
	s_mov_b32 s16, 0
                                        ; implicit-def: $vgpr10
.LBB8_255:
	s_and_b32 s7, s0, exec_lo
	s_and_b32 s13, s13, exec_lo
	s_orn2_b32 s17, s16, exec_lo
.LBB8_256:
	s_or_b32 exec_lo, exec_lo, s14
	s_mov_b32 s16, 0
	s_mov_b32 s0, 0
                                        ; implicit-def: $vgpr0_vgpr1
                                        ; implicit-def: $vgpr2_vgpr3
	s_and_saveexec_b32 s14, s17
	s_cbranch_execz .LBB8_265
; %bb.257:
	s_mov_b32 s0, -1
	s_mov_b32 s15, s13
	s_mov_b32 s16, s7
	s_mov_b32 s17, exec_lo
	v_cmpx_gt_i32_e64 s12, v10
	s_cbranch_execz .LBB8_523
; %bb.258:
	v_mul_lo_u32 v0, v10, s3
	s_and_b32 s0, 0xffff, s5
	s_cmp_lt_i32 s0, 11
	v_ashrrev_i32_e32 v1, 31, v0
	v_add_co_u32 v0, vcc_lo, s10, v0
	v_add_co_ci_u32_e64 v1, null, s11, v1, vcc_lo
	s_cbranch_scc1 .LBB8_268
; %bb.259:
	s_cmp_gt_i32 s0, 25
	s_cbranch_scc0 .LBB8_281
; %bb.260:
	s_cmp_gt_i32 s0, 28
	s_cbranch_scc0 .LBB8_283
	;; [unrolled: 3-line block ×4, first 2 shown]
; %bb.263:
	s_cmp_eq_u32 s0, 46
	s_mov_b32 s18, 0
	s_cbranch_scc0 .LBB8_293
; %bb.264:
	global_load_dword v2, v[0:1], off
	s_mov_b32 s16, -1
	s_mov_b32 s15, 0
	s_waitcnt vmcnt(0)
	v_lshlrev_b32_e32 v2, 16, v2
	v_cvt_f64_f32_e32 v[2:3], v2
	s_branch .LBB8_295
.LBB8_265:
	s_or_b32 exec_lo, exec_lo, s14
	s_mov_b32 s12, 0
	s_and_saveexec_b32 s14, s13
	s_cbranch_execnz .LBB8_875
.LBB8_266:
	s_or_b32 exec_lo, exec_lo, s14
	s_and_saveexec_b32 s13, s15
	s_xor_b32 s13, exec_lo, s13
	s_cbranch_execz .LBB8_876
.LBB8_267:
	global_load_ubyte v2, v[0:1], off
	s_or_b32 s0, s0, exec_lo
	s_waitcnt vmcnt(0)
	v_cmp_ne_u16_e32 vcc_lo, 0, v2
	v_mov_b32_e32 v2, 0
	v_cndmask_b32_e64 v3, 0, 0x3ff00000, vcc_lo
	s_or_b32 exec_lo, exec_lo, s13
	s_and_saveexec_b32 s13, s16
	s_cbranch_execz .LBB8_922
	s_branch .LBB8_877
.LBB8_268:
	s_mov_b32 s16, 0
	s_mov_b32 s15, s13
                                        ; implicit-def: $vgpr2_vgpr3
	s_cbranch_execnz .LBB8_472
.LBB8_269:
	s_andn2_b32 vcc_lo, exec_lo, s16
	s_cbranch_vccnz .LBB8_520
.LBB8_270:
	s_waitcnt vmcnt(0)
	v_cmp_ge_f64_e64 s0, 0x40200000, |v[2:3]|
                                        ; implicit-def: $vgpr0_vgpr1
	s_and_saveexec_b32 s16, s0
	s_xor_b32 s0, exec_lo, s16
	s_cbranch_execz .LBB8_272
; %bb.271:
	v_fma_f64 v[0:1], |v[2:3]|, 0.5, -2.0
	s_mov_b32 s18, 0x977da589
	s_mov_b32 s19, 0x3c833362
	;; [unrolled: 1-line block ×4, first 2 shown]
	v_fma_f64 v[4:5], v[0:1], s[20:21], s[18:19]
	s_mov_b32 s21, 0x3c545cb7
	s_mov_b32 s18, 0x721ebbb4
	;; [unrolled: 1-line block ×3, first 2 shown]
	v_fma_f64 v[6:7], v[0:1], v[4:5], s[20:21]
	s_mov_b32 s20, 0x3b39803f
	s_mov_b32 s21, 0xbc7abc9e
	v_add_f64 v[6:7], v[6:7], s[18:19]
	s_mov_b32 s18, 0x93f65eba
	s_mov_b32 s19, 0x3cdee6d8
	v_fma_f64 v[4:5], v[0:1], v[6:7], -v[4:5]
	v_add_f64 v[4:5], v[4:5], s[18:19]
	s_mov_b32 s18, 0xc297fbeb
	s_mov_b32 s19, 0xbd0a5022
	v_fma_f64 v[6:7], v[0:1], v[4:5], -v[6:7]
	;; [unrolled: 4-line block ×20, first 2 shown]
	v_add_f64 v[6:7], v[6:7], s[18:19]
	s_mov_b32 s18, 0x652b82fe
	s_mov_b32 s19, 0x3ff71547
	v_mul_f64 v[8:9], |v[2:3]|, s[18:19]
	s_mov_b32 s18, 0xf3dde3dd
	s_mov_b32 s19, 0x3f859961
	v_fma_f64 v[4:5], v[0:1], v[6:7], -v[4:5]
	v_rndne_f64_e32 v[8:9], v[8:9]
	v_add_f64 v[4:5], v[4:5], s[18:19]
	s_mov_b32 s18, 0xfefa39ef
	s_mov_b32 s19, 0xbfe62e42
	v_fma_f64 v[2:3], v[8:9], s[18:19], |v[2:3]|
	s_mov_b32 s18, 0xf121b6f0
	s_mov_b32 s19, 0xbf984e9e
	v_fma_f64 v[6:7], v[0:1], v[4:5], -v[6:7]
	v_fma_f64 v[2:3], v[8:9], s[20:21], v[2:3]
	s_mov_b32 s20, 0x6a5dcb37
	s_mov_b32 s21, 0x3e5ade15
	v_add_f64 v[6:7], v[6:7], s[18:19]
	s_mov_b32 s18, 0xfca7ab0c
	s_mov_b32 s19, 0x3e928af3
	v_fma_f64 v[11:12], v[2:3], s[20:21], s[18:19]
	s_mov_b32 s18, 0xcea8a32d
	s_mov_b32 s20, 0x623fde64
	;; [unrolled: 1-line block ×4, first 2 shown]
	v_fma_f64 v[4:5], v[0:1], v[6:7], -v[4:5]
	v_fma_f64 v[11:12], v[2:3], v[11:12], s[20:21]
	s_mov_b32 s20, 0x14761f6e
	s_mov_b32 s21, 0x3f2a01a0
	v_add_f64 v[4:5], v[4:5], s[18:19]
	s_mov_b32 s18, 0x7c89e6b0
	s_mov_b32 s19, 0x3efa0199
	v_fma_f64 v[11:12], v[2:3], v[11:12], s[18:19]
	s_mov_b32 s18, 0x342d06ea
	s_mov_b32 s19, 0xbfb84b70
	v_fma_f64 v[6:7], v[0:1], v[4:5], -v[6:7]
	v_fma_f64 v[11:12], v[2:3], v[11:12], s[20:21]
	s_mov_b32 s20, 0x11122322
	s_mov_b32 s21, 0x3f811111
	v_add_f64 v[6:7], v[6:7], s[18:19]
	s_mov_b32 s18, 0x1852b7b0
	s_mov_b32 s19, 0x3f56c16c
	v_fma_f64 v[11:12], v[2:3], v[11:12], s[18:19]
	s_mov_b32 s18, 0x77ac88c0
	s_mov_b32 s19, 0x3fc5f7ac
	;; [unrolled: 10-line block ×3, first 2 shown]
	v_fma_f64 v[6:7], v[0:1], v[4:5], -v[6:7]
	v_fma_f64 v[11:12], v[2:3], v[11:12], s[20:21]
	v_add_f64 v[6:7], v[6:7], s[18:19]
	s_mov_b32 s18, 11
	s_mov_b32 s19, 0x3fe00000
	v_fma_f64 v[11:12], v[2:3], v[11:12], s[18:19]
	s_mov_b32 s18, 0x9035a22a
	s_mov_b32 s19, 0x3fe5a84e
	v_fma_f64 v[0:1], v[0:1], v[6:7], -v[4:5]
	v_fma_f64 v[6:7], v[2:3], v[11:12], 1.0
	v_add_f64 v[0:1], v[0:1], s[18:19]
	v_fma_f64 v[2:3], v[2:3], v[6:7], 1.0
	v_cvt_i32_f64_e32 v6, v[8:9]
	v_add_f64 v[0:1], v[0:1], -v[4:5]
	v_ldexp_f64 v[2:3], v[2:3], v6
	v_mul_f64 v[0:1], v[0:1], 0.5
	v_mul_f64 v[0:1], v[2:3], v[0:1]
                                        ; implicit-def: $vgpr2_vgpr3
.LBB8_272:
	s_andn2_saveexec_b32 s16, s0
	s_cbranch_execz .LBB8_274
; %bb.273:
	v_and_b32_e32 v1, 0x7fffffff, v3
	v_mov_b32_e32 v0, v2
	s_mov_b32 s18, 0x66119130
	s_mov_b32 s19, 0xbc5646da
	;; [unrolled: 1-line block ×4, first 2 shown]
	v_div_scale_f64 v[4:5], null, v[0:1], v[0:1], 0x40400000
	v_div_scale_f64 v[0:1], vcc_lo, 0x40400000, v[0:1], 0x40400000
	v_cmp_gt_f64_e64 s0, 0x10000000, |v[2:3]|
	v_rcp_f64_e32 v[6:7], v[4:5]
	v_cndmask_b32_e64 v15, 0, 0x100, s0
	v_ldexp_f64 v[15:16], |v[2:3]|, v15
	v_fma_f64 v[8:9], -v[4:5], v[6:7], 1.0
	v_rsq_f64_e32 v[17:18], v[15:16]
	v_fma_f64 v[6:7], v[6:7], v[8:9], v[6:7]
	v_mul_f64 v[19:20], v[15:16], v[17:18]
	v_mul_f64 v[17:18], v[17:18], 0.5
	v_fma_f64 v[8:9], -v[4:5], v[6:7], 1.0
	v_fma_f64 v[21:22], -v[17:18], v[19:20], 0.5
	v_fma_f64 v[6:7], v[6:7], v[8:9], v[6:7]
	v_fma_f64 v[19:20], v[19:20], v[21:22], v[19:20]
	;; [unrolled: 1-line block ×3, first 2 shown]
	v_mul_f64 v[8:9], v[0:1], v[6:7]
	v_fma_f64 v[21:22], -v[19:20], v[19:20], v[15:16]
	v_fma_f64 v[0:1], -v[4:5], v[8:9], v[0:1]
	v_div_fmas_f64 v[0:1], v[0:1], v[6:7], v[8:9]
	v_cmp_nlt_f64_e64 vcc_lo, 0x40900000, |v[2:3]|
	v_div_fixup_f64 v[0:1], v[0:1], |v[2:3]|, 0x40400000
	v_add_f64 v[0:1], v[0:1], -2.0
	v_fma_f64 v[4:5], v[0:1], s[20:21], s[18:19]
	s_mov_b32 s21, 0x3c60adb7
	s_mov_b32 s18, 0x12d98421
	;; [unrolled: 1-line block ×3, first 2 shown]
	v_fma_f64 v[6:7], v[0:1], v[4:5], s[20:21]
	s_mov_b32 s20, 0x6a5dcb37
	s_mov_b32 s21, 0x3e5ade15
	v_add_f64 v[6:7], v[6:7], s[18:19]
	s_mov_b32 s18, 0x76041cd
	s_mov_b32 s19, 0x3c83f3dd
	v_fma_f64 v[4:5], v[0:1], v[6:7], -v[4:5]
	v_add_f64 v[4:5], v[4:5], s[18:19]
	s_mov_b32 s18, 0xabd21fe4
	s_mov_b32 s19, 0xbcb4600b
	v_fma_f64 v[6:7], v[0:1], v[4:5], -v[6:7]
	;; [unrolled: 4-line block ×15, first 2 shown]
	v_add_f64 v[4:5], v[4:5], s[18:19]
	s_mov_b32 s18, 0x652b82fe
	s_mov_b32 s19, 0x3ff71547
	v_mul_f64 v[8:9], |v[2:3]|, s[18:19]
	s_mov_b32 s18, 0xa9225b87
	s_mov_b32 s19, 0x3e2d2c64
	v_fma_f64 v[6:7], v[0:1], v[4:5], -v[6:7]
	v_rndne_f64_e32 v[8:9], v[8:9]
	v_add_f64 v[6:7], v[6:7], s[18:19]
	s_mov_b32 s18, 0xfefa39ef
	s_mov_b32 s19, 0xbfe62e42
	v_fma_f64 v[11:12], v[8:9], s[18:19], |v[2:3]|
	s_mov_b32 s18, 0x3b39803f
	s_mov_b32 s19, 0xbc7abc9e
	v_cndmask_b32_e64 v2, 0, 0xffffff80, s0
	v_cmp_class_f64_e64 s0, v[15:16], 0x260
	v_fma_f64 v[4:5], v[0:1], v[6:7], -v[4:5]
	v_fma_f64 v[11:12], v[8:9], s[18:19], v[11:12]
	s_mov_b32 s18, 0x80d6d56d
	s_mov_b32 s19, 0x3e585692
	v_add_f64 v[4:5], v[4:5], s[18:19]
	s_mov_b32 s18, 0xfca7ab0c
	s_mov_b32 s19, 0x3e928af3
	v_fma_f64 v[13:14], v[11:12], s[20:21], s[18:19]
	s_mov_b32 s18, 0x623fde64
	s_mov_b32 s19, 0x3ec71dee
	v_fma_f64 v[6:7], v[0:1], v[4:5], -v[6:7]
	v_fma_f64 v[13:14], v[11:12], v[13:14], s[18:19]
	s_mov_b32 s18, 0xd9cd616e
	s_mov_b32 s19, 0x3e8b8007
	v_add_f64 v[6:7], v[6:7], s[18:19]
	s_mov_b32 s18, 0x7c89e6b0
	s_mov_b32 s19, 0x3efa0199
	v_fma_f64 v[13:14], v[11:12], v[13:14], s[18:19]
	s_mov_b32 s18, 0x14761f6e
	s_mov_b32 s19, 0x3f2a01a0
	v_fma_f64 v[4:5], v[0:1], v[6:7], -v[4:5]
	v_fma_f64 v[13:14], v[11:12], v[13:14], s[18:19]
	s_mov_b32 s18, 0xc101c586
	s_mov_b32 s19, 0x3ec8412b
	v_add_f64 v[4:5], v[4:5], s[18:19]
	s_mov_b32 s18, 0x1852b7b0
	s_mov_b32 s19, 0x3f56c16c
	v_fma_f64 v[13:14], v[11:12], v[13:14], s[18:19]
	s_mov_b32 s18, 0x11122322
	s_mov_b32 s19, 0x3f811111
	v_fma_f64 v[6:7], v[0:1], v[4:5], -v[6:7]
	v_fma_f64 v[13:14], v[11:12], v[13:14], s[18:19]
	s_mov_b32 s18, 0x78999e52
	s_mov_b32 s19, 0x3f120fa3
	v_add_f64 v[6:7], v[6:7], s[18:19]
	s_mov_b32 s18, 0x555502a1
	s_mov_b32 s19, 0x3fa55555
	v_fma_f64 v[13:14], v[11:12], v[13:14], s[18:19]
	s_mov_b32 s18, 0x55555511
	s_mov_b32 s19, 0x3fc55555
	v_fma_f64 v[4:5], v[0:1], v[6:7], -v[4:5]
	v_fma_f64 v[13:14], v[11:12], v[13:14], s[18:19]
	s_mov_b32 s18, 0xa2e59049
	s_mov_b32 s19, 0x3f6b998c
	v_add_f64 v[4:5], v[4:5], s[18:19]
	s_mov_b32 s18, 11
	s_mov_b32 s19, 0x3fe00000
	v_fma_f64 v[13:14], v[11:12], v[13:14], s[18:19]
	s_mov_b32 s18, 0xaca809cb
	s_mov_b32 s19, 0x3fe9be62
	v_fma_f64 v[0:1], v[0:1], v[4:5], -v[6:7]
	v_fma_f64 v[4:5], v[21:22], v[17:18], v[19:20]
	v_cvt_i32_f64_e32 v21, v[8:9]
	v_fma_f64 v[13:14], v[11:12], v[13:14], 1.0
	v_add_f64 v[0:1], v[0:1], s[18:19]
	v_fma_f64 v[19:20], -v[4:5], v[4:5], v[15:16]
	v_fma_f64 v[8:9], v[11:12], v[13:14], 1.0
	v_add_f64 v[0:1], v[0:1], -v[6:7]
	v_fma_f64 v[4:5], v[19:20], v[17:18], v[4:5]
	v_ldexp_f64 v[6:7], v[8:9], v21
	v_mul_f64 v[0:1], v[0:1], 0.5
	v_ldexp_f64 v[2:3], v[4:5], v2
	v_cndmask_b32_e32 v5, 0x7ff00000, v7, vcc_lo
	v_cndmask_b32_e32 v4, 0, v6, vcc_lo
	v_mul_f64 v[0:1], v[4:5], v[0:1]
	v_cndmask_b32_e64 v3, v3, v16, s0
	v_cndmask_b32_e64 v2, v2, v15, s0
	v_div_scale_f64 v[4:5], null, v[2:3], v[2:3], v[0:1]
	v_rcp_f64_e32 v[6:7], v[4:5]
	v_fma_f64 v[8:9], -v[4:5], v[6:7], 1.0
	v_fma_f64 v[6:7], v[6:7], v[8:9], v[6:7]
	v_fma_f64 v[8:9], -v[4:5], v[6:7], 1.0
	v_fma_f64 v[6:7], v[6:7], v[8:9], v[6:7]
	v_div_scale_f64 v[8:9], vcc_lo, v[0:1], v[2:3], v[0:1]
	v_mul_f64 v[11:12], v[8:9], v[6:7]
	v_fma_f64 v[4:5], -v[4:5], v[11:12], v[8:9]
	v_div_fmas_f64 v[4:5], v[4:5], v[6:7], v[11:12]
	v_div_fixup_f64 v[0:1], v[4:5], v[2:3], v[0:1]
.LBB8_274:
	s_or_b32 exec_lo, exec_lo, s16
	v_mul_lo_u32 v2, v10, s2
	s_and_b32 s16, s1, 0xff
	s_cmp_lt_i32 s16, 11
	v_ashrrev_i32_e32 v3, 31, v2
	v_add_co_u32 v4, vcc_lo, s8, v2
	v_add_co_ci_u32_e64 v5, null, s9, v3, vcc_lo
	s_cbranch_scc1 .LBB8_282
; %bb.275:
	s_and_b32 s18, 0xffff, s16
	s_cmp_gt_i32 s18, 25
	s_cbranch_scc0 .LBB8_284
; %bb.276:
	s_cmp_gt_i32 s18, 28
	s_cbranch_scc0 .LBB8_286
; %bb.277:
	;; [unrolled: 3-line block ×4, first 2 shown]
	s_mov_b32 s20, 0
	s_mov_b32 s0, -1
	s_cmp_eq_u32 s18, 46
	s_mov_b32 s19, 0
	s_cbranch_scc0 .LBB8_299
; %bb.280:
	v_cvt_f32_f64_e32 v2, v[0:1]
	s_mov_b32 s19, -1
	s_mov_b32 s0, 0
	v_bfe_u32 v3, v2, 16, 1
	v_cmp_o_f32_e32 vcc_lo, v2, v2
	v_add3_u32 v2, v2, v3, 0x7fff
	v_mov_b32_e32 v3, 0x7fc0
	v_cndmask_b32_sdwa v2, v3, v2, vcc_lo dst_sel:DWORD dst_unused:UNUSED_PAD src0_sel:DWORD src1_sel:WORD_1
	global_store_dword v[4:5], v2, off
	s_branch .LBB8_299
.LBB8_281:
	s_mov_b32 s18, -1
	s_mov_b32 s16, 0
	s_mov_b32 s15, s13
                                        ; implicit-def: $vgpr2_vgpr3
	s_branch .LBB8_438
.LBB8_282:
	s_mov_b32 s18, -1
	s_mov_b32 s19, 0
	s_mov_b32 s0, s7
	s_branch .LBB8_368
.LBB8_283:
	s_mov_b32 s18, -1
	s_mov_b32 s16, 0
	s_mov_b32 s15, s13
                                        ; implicit-def: $vgpr2_vgpr3
	s_branch .LBB8_417
.LBB8_284:
	s_mov_b32 s20, -1
	s_mov_b32 s19, 0
	s_mov_b32 s0, s7
	s_branch .LBB8_326
.LBB8_285:
	s_mov_b32 s18, -1
	s_mov_b32 s16, 0
	s_mov_b32 s15, s13
                                        ; implicit-def: $vgpr2_vgpr3
	s_branch .LBB8_412
.LBB8_286:
	s_mov_b32 s20, -1
	s_mov_b32 s19, 0
	s_mov_b32 s0, s7
	s_branch .LBB8_309
.LBB8_287:
	s_andn2_saveexec_b32 s19, s19
	s_cbranch_execz .LBB8_58
.LBB8_288:
	v_add_f32_e64 v3, 0x46000000, |v2|
	s_andn2_b32 s18, s18, exec_lo
	v_and_b32_e32 v3, 0xff, v3
	v_cmp_ne_u32_e32 vcc_lo, 0, v3
	s_and_b32 s20, vcc_lo, exec_lo
	s_or_b32 s18, s18, s20
	s_or_b32 exec_lo, exec_lo, s19
	v_mov_b32_e32 v6, 0
	s_and_saveexec_b32 s19, s18
	s_cbranch_execnz .LBB8_59
	s_branch .LBB8_60
.LBB8_289:
	s_mov_b32 s18, -1
	s_mov_b32 s16, 0
	s_mov_b32 s15, s13
	s_branch .LBB8_294
.LBB8_290:
	s_mov_b32 s20, -1
	s_mov_b32 s19, 0
	s_mov_b32 s0, s7
	s_branch .LBB8_305
.LBB8_291:
	s_andn2_saveexec_b32 s19, s19
	s_cbranch_execz .LBB8_71
.LBB8_292:
	v_add_f32_e64 v3, 0x42800000, |v2|
	s_andn2_b32 s18, s18, exec_lo
	v_and_b32_e32 v3, 0xff, v3
	v_cmp_ne_u32_e32 vcc_lo, 0, v3
	s_and_b32 s20, vcc_lo, exec_lo
	s_or_b32 s18, s18, s20
	s_or_b32 exec_lo, exec_lo, s19
	v_mov_b32_e32 v6, 0
	s_and_saveexec_b32 s19, s18
	s_cbranch_execnz .LBB8_72
	s_branch .LBB8_73
.LBB8_293:
	s_mov_b32 s15, -1
	s_mov_b32 s16, 0
.LBB8_294:
                                        ; implicit-def: $vgpr2_vgpr3
.LBB8_295:
	s_and_b32 vcc_lo, exec_lo, s18
	s_cbranch_vccz .LBB8_411
; %bb.296:
	s_cmp_eq_u32 s0, 44
	s_cbranch_scc0 .LBB8_410
; %bb.297:
	global_load_ubyte v4, v[0:1], off
	s_mov_b32 s15, 0
	s_mov_b32 s16, -1
	s_waitcnt vmcnt(0)
	v_lshlrev_b32_e32 v2, 23, v4
	v_cmp_ne_u32_e32 vcc_lo, 0xff, v4
	v_cvt_f64_f32_e32 v[2:3], v2
	v_cndmask_b32_e32 v2, 0x20000000, v2, vcc_lo
	v_cndmask_b32_e32 v3, 0x7ff80000, v3, vcc_lo
	v_cmp_ne_u32_e32 vcc_lo, 0, v4
	v_cndmask_b32_e32 v3, 0x38000000, v3, vcc_lo
	v_cndmask_b32_e32 v2, 0, v2, vcc_lo
	s_branch .LBB8_411
.LBB8_298:
	s_mov_b32 s20, -1
	s_mov_b32 s19, 0
	s_mov_b32 s0, s7
.LBB8_299:
	s_and_b32 vcc_lo, exec_lo, s20
	s_cbranch_vccz .LBB8_304
; %bb.300:
	s_cmp_eq_u32 s18, 44
	s_mov_b32 s0, -1
	s_cbranch_scc0 .LBB8_304
; %bb.301:
	v_cvt_f32_f64_e32 v2, v[0:1]
	v_mov_b32_e32 v3, 0xff
	s_mov_b32 s19, exec_lo
	v_bfe_u32 v6, v2, 23, 8
	v_cmpx_ne_u32_e32 0xff, v6
	s_cbranch_execz .LBB8_303
; %bb.302:
	v_and_b32_e32 v3, 0x400000, v2
	v_and_or_b32 v6, 0x3fffff, v2, v6
	v_lshrrev_b32_e32 v2, 23, v2
	v_cmp_ne_u32_e32 vcc_lo, 0, v3
	v_cmp_ne_u32_e64 s0, 0, v6
	s_and_b32 s0, vcc_lo, s0
	v_cndmask_b32_e64 v3, 0, 1, s0
	v_add_nc_u32_e32 v3, v2, v3
.LBB8_303:
	s_or_b32 exec_lo, exec_lo, s19
	s_mov_b32 s19, -1
	s_mov_b32 s0, 0
	global_store_byte v[4:5], v3, off
.LBB8_304:
	s_mov_b32 s20, 0
.LBB8_305:
	s_and_b32 vcc_lo, exec_lo, s20
	s_cbranch_vccz .LBB8_308
; %bb.306:
	s_cmp_eq_u32 s18, 29
	s_mov_b32 s0, -1
	s_cbranch_scc0 .LBB8_308
; %bb.307:
	v_trunc_f64_e32 v[2:3], v[0:1]
	s_mov_b32 s19, -1
	s_mov_b32 s0, 0
	s_mov_b32 s20, 0
	v_ldexp_f64 v[6:7], v[2:3], 0xffffffe0
	v_floor_f64_e32 v[6:7], v[6:7]
	v_fma_f64 v[2:3], 0xc1f00000, v[6:7], v[2:3]
	v_cvt_u32_f64_e32 v7, v[6:7]
	v_cvt_u32_f64_e32 v6, v[2:3]
	global_store_dwordx2 v[4:5], v[6:7], off
	s_branch .LBB8_309
.LBB8_308:
	s_mov_b32 s20, 0
.LBB8_309:
	s_and_b32 vcc_lo, exec_lo, s20
	s_cbranch_vccz .LBB8_325
; %bb.310:
	s_cmp_lt_i32 s18, 27
	s_mov_b32 s19, -1
	s_cbranch_scc1 .LBB8_316
; %bb.311:
	v_cvt_u32_f64_e32 v2, v[0:1]
	s_cmp_gt_i32 s18, 27
	s_cbranch_scc0 .LBB8_313
; %bb.312:
	s_mov_b32 s19, 0
	global_store_dword v[4:5], v2, off
.LBB8_313:
	s_andn2_b32 vcc_lo, exec_lo, s19
	s_cbranch_vccnz .LBB8_315
; %bb.314:
	global_store_short v[4:5], v2, off
.LBB8_315:
	s_mov_b32 s19, 0
.LBB8_316:
	s_andn2_b32 vcc_lo, exec_lo, s19
	s_cbranch_vccnz .LBB8_324
; %bb.317:
	v_cvt_f32_f64_e32 v2, v[0:1]
	v_mov_b32_e32 v6, 0x80
	s_mov_b32 s19, exec_lo
	v_and_b32_e32 v3, 0x7fffffff, v2
	v_cmpx_gt_u32_e32 0x43800000, v3
	s_cbranch_execz .LBB8_323
; %bb.318:
	v_cmp_lt_u32_e32 vcc_lo, 0x3bffffff, v3
	s_mov_b32 s20, 0
                                        ; implicit-def: $vgpr3
	s_and_saveexec_b32 s21, vcc_lo
	s_xor_b32 s21, exec_lo, s21
	s_cbranch_execz .LBB8_536
; %bb.319:
	v_bfe_u32 v3, v2, 20, 1
	s_mov_b32 s20, exec_lo
	v_add3_u32 v3, v2, v3, 0x487ffff
	v_lshrrev_b32_e32 v3, 20, v3
	s_andn2_saveexec_b32 s21, s21
	s_cbranch_execnz .LBB8_537
.LBB8_320:
	s_or_b32 exec_lo, exec_lo, s21
	v_mov_b32_e32 v6, 0
	s_and_saveexec_b32 s21, s20
.LBB8_321:
	v_lshrrev_b32_e32 v2, 24, v2
	v_and_or_b32 v6, 0x80, v2, v3
.LBB8_322:
	s_or_b32 exec_lo, exec_lo, s21
.LBB8_323:
	s_or_b32 exec_lo, exec_lo, s19
	global_store_byte v[4:5], v6, off
.LBB8_324:
	s_mov_b32 s19, -1
.LBB8_325:
	s_mov_b32 s20, 0
.LBB8_326:
	s_and_b32 vcc_lo, exec_lo, s20
	s_cbranch_vccz .LBB8_367
; %bb.327:
	s_cmp_gt_i32 s18, 22
	s_mov_b32 s20, -1
	s_cbranch_scc0 .LBB8_359
; %bb.328:
	s_cmp_lt_i32 s18, 24
	s_mov_b32 s19, -1
	s_cbranch_scc1 .LBB8_348
; %bb.329:
	s_cmp_gt_i32 s18, 24
	s_cbranch_scc0 .LBB8_337
; %bb.330:
	v_cvt_f32_f64_e32 v2, v[0:1]
	v_mov_b32_e32 v6, 0x80
	s_mov_b32 s19, exec_lo
	v_and_b32_e32 v3, 0x7fffffff, v2
	v_cmpx_gt_u32_e32 0x47800000, v3
	s_cbranch_execz .LBB8_336
; %bb.331:
	v_cmp_lt_u32_e32 vcc_lo, 0x37ffffff, v3
	s_mov_b32 s20, 0
                                        ; implicit-def: $vgpr3
	s_and_saveexec_b32 s21, vcc_lo
	s_xor_b32 s21, exec_lo, s21
	s_cbranch_execz .LBB8_539
; %bb.332:
	v_bfe_u32 v3, v2, 21, 1
	s_mov_b32 s20, exec_lo
	v_add3_u32 v3, v2, v3, 0x88fffff
	v_lshrrev_b32_e32 v3, 21, v3
	s_andn2_saveexec_b32 s21, s21
	s_cbranch_execnz .LBB8_540
.LBB8_333:
	s_or_b32 exec_lo, exec_lo, s21
	v_mov_b32_e32 v6, 0
	s_and_saveexec_b32 s21, s20
.LBB8_334:
	v_lshrrev_b32_e32 v2, 24, v2
	v_and_or_b32 v6, 0x80, v2, v3
.LBB8_335:
	s_or_b32 exec_lo, exec_lo, s21
.LBB8_336:
	s_or_b32 exec_lo, exec_lo, s19
	s_mov_b32 s19, 0
	global_store_byte v[4:5], v6, off
.LBB8_337:
	s_and_b32 vcc_lo, exec_lo, s19
	s_cbranch_vccz .LBB8_347
; %bb.338:
	v_cvt_f32_f64_e32 v2, v[0:1]
	s_mov_b32 s19, exec_lo
                                        ; implicit-def: $vgpr3
	v_and_b32_e32 v6, 0x7fffffff, v2
	v_cmpx_gt_u32_e32 0x43f00000, v6
	s_xor_b32 s19, exec_lo, s19
	s_cbranch_execz .LBB8_344
; %bb.339:
	s_mov_b32 s20, exec_lo
                                        ; implicit-def: $vgpr3
	v_cmpx_lt_u32_e32 0x3c7fffff, v6
	s_xor_b32 s20, exec_lo, s20
; %bb.340:
	v_bfe_u32 v3, v2, 20, 1
	v_add3_u32 v3, v2, v3, 0x407ffff
	v_and_b32_e32 v6, 0xff00000, v3
	v_lshrrev_b32_e32 v3, 20, v3
	v_cmp_ne_u32_e32 vcc_lo, 0x7f00000, v6
	v_cndmask_b32_e32 v3, 0x7e, v3, vcc_lo
; %bb.341:
	s_andn2_saveexec_b32 s20, s20
; %bb.342:
	v_add_f32_e64 v3, 0x46800000, |v2|
; %bb.343:
	s_or_b32 exec_lo, exec_lo, s20
                                        ; implicit-def: $vgpr6
.LBB8_344:
	s_andn2_saveexec_b32 s19, s19
; %bb.345:
	v_mov_b32_e32 v3, 0x7f
	v_cmp_lt_u32_e32 vcc_lo, 0x7f800000, v6
	v_cndmask_b32_e32 v3, 0x7e, v3, vcc_lo
; %bb.346:
	s_or_b32 exec_lo, exec_lo, s19
	v_lshrrev_b32_e32 v2, 24, v2
	v_and_or_b32 v2, 0x80, v2, v3
	global_store_byte v[4:5], v2, off
.LBB8_347:
	s_mov_b32 s19, 0
.LBB8_348:
	s_andn2_b32 vcc_lo, exec_lo, s19
	s_cbranch_vccnz .LBB8_358
; %bb.349:
	v_cvt_f32_f64_e32 v2, v[0:1]
	s_mov_b32 s19, exec_lo
                                        ; implicit-def: $vgpr3
	v_and_b32_e32 v6, 0x7fffffff, v2
	v_cmpx_gt_u32_e32 0x47800000, v6
	s_xor_b32 s19, exec_lo, s19
	s_cbranch_execz .LBB8_355
; %bb.350:
	s_mov_b32 s20, exec_lo
                                        ; implicit-def: $vgpr3
	v_cmpx_lt_u32_e32 0x387fffff, v6
	s_xor_b32 s20, exec_lo, s20
; %bb.351:
	v_bfe_u32 v3, v2, 21, 1
	v_add3_u32 v3, v2, v3, 0x80fffff
	v_lshrrev_b32_e32 v3, 21, v3
; %bb.352:
	s_andn2_saveexec_b32 s20, s20
; %bb.353:
	v_add_f32_e64 v3, 0x43000000, |v2|
; %bb.354:
	s_or_b32 exec_lo, exec_lo, s20
                                        ; implicit-def: $vgpr6
.LBB8_355:
	s_andn2_saveexec_b32 s19, s19
; %bb.356:
	v_mov_b32_e32 v3, 0x7f
	v_cmp_lt_u32_e32 vcc_lo, 0x7f800000, v6
	v_cndmask_b32_e32 v3, 0x7c, v3, vcc_lo
; %bb.357:
	s_or_b32 exec_lo, exec_lo, s19
	v_lshrrev_b32_e32 v2, 24, v2
	v_and_or_b32 v2, 0x80, v2, v3
	global_store_byte v[4:5], v2, off
.LBB8_358:
	s_mov_b32 s20, 0
	s_mov_b32 s19, -1
.LBB8_359:
	s_andn2_b32 vcc_lo, exec_lo, s20
	s_cbranch_vccnz .LBB8_367
; %bb.360:
	s_cmp_gt_i32 s18, 14
	s_mov_b32 s20, -1
	s_cbranch_scc0 .LBB8_364
; %bb.361:
	s_cmp_eq_u32 s18, 15
	s_mov_b32 s0, -1
	s_cbranch_scc0 .LBB8_363
; %bb.362:
	v_cvt_f32_f64_e32 v2, v[0:1]
	s_mov_b32 s19, -1
	s_mov_b32 s0, 0
	v_bfe_u32 v3, v2, 16, 1
	v_cmp_o_f32_e32 vcc_lo, v2, v2
	v_add3_u32 v2, v2, v3, 0x7fff
	v_mov_b32_e32 v3, 0x7fc0
	v_cndmask_b32_sdwa v2, v3, v2, vcc_lo dst_sel:DWORD dst_unused:UNUSED_PAD src0_sel:DWORD src1_sel:WORD_1
	global_store_short v[4:5], v2, off
.LBB8_363:
	s_mov_b32 s20, 0
.LBB8_364:
	s_and_b32 vcc_lo, exec_lo, s20
	s_cbranch_vccz .LBB8_367
; %bb.365:
	s_cmp_eq_u32 s18, 11
	s_mov_b32 s0, -1
	s_cbranch_scc0 .LBB8_367
; %bb.366:
	v_cmp_neq_f64_e32 vcc_lo, 0, v[0:1]
	s_mov_b32 s19, -1
	s_mov_b32 s0, 0
	v_cndmask_b32_e64 v2, 0, 1, vcc_lo
	global_store_byte v[4:5], v2, off
.LBB8_367:
	s_mov_b32 s18, 0
.LBB8_368:
	s_and_b32 vcc_lo, exec_lo, s18
	s_cbranch_vccz .LBB8_407
; %bb.369:
	s_and_b32 s16, 0xffff, s16
	s_mov_b32 s18, -1
	s_cmp_lt_i32 s16, 5
	s_cbranch_scc1 .LBB8_390
; %bb.370:
	s_cmp_lt_i32 s16, 8
	s_cbranch_scc1 .LBB8_380
; %bb.371:
	s_cmp_lt_i32 s16, 9
	s_cbranch_scc1 .LBB8_377
; %bb.372:
	s_cmp_gt_i32 s16, 9
	s_cbranch_scc0 .LBB8_374
; %bb.373:
	v_mov_b32_e32 v2, 0
	s_mov_b32 s18, 0
	v_mov_b32_e32 v3, v2
	global_store_dwordx4 v[4:5], v[0:3], off
.LBB8_374:
	s_andn2_b32 vcc_lo, exec_lo, s18
	s_cbranch_vccnz .LBB8_376
; %bb.375:
	v_cvt_f32_f64_e32 v2, v[0:1]
	v_mov_b32_e32 v3, 0
	global_store_dwordx2 v[4:5], v[2:3], off
.LBB8_376:
	s_mov_b32 s18, 0
.LBB8_377:
	s_andn2_b32 vcc_lo, exec_lo, s18
	s_cbranch_vccnz .LBB8_379
; %bb.378:
	v_and_or_b32 v2, 0x1ff, v1, v0
	v_lshrrev_b32_e32 v3, 8, v1
	v_bfe_u32 v6, v1, 20, 11
	v_cmp_ne_u32_e32 vcc_lo, 0, v2
	v_sub_nc_u32_e32 v7, 0x3f1, v6
	v_add_nc_u32_e32 v6, 0xfffffc10, v6
	v_cndmask_b32_e64 v2, 0, 1, vcc_lo
	v_and_or_b32 v2, 0xffe, v3, v2
	v_med3_i32 v3, v7, 0, 13
	v_or_b32_e32 v7, 0x1000, v2
	v_lshrrev_b32_e32 v8, v3, v7
	v_lshlrev_b32_e32 v3, v3, v8
	v_cmp_ne_u32_e32 vcc_lo, v3, v7
	v_lshl_or_b32 v7, v6, 12, v2
	v_cndmask_b32_e64 v3, 0, 1, vcc_lo
	v_cmp_gt_i32_e32 vcc_lo, 1, v6
	v_or_b32_e32 v3, v8, v3
	v_cndmask_b32_e32 v3, v7, v3, vcc_lo
	v_and_b32_e32 v7, 7, v3
	v_lshrrev_b32_e32 v3, 2, v3
	v_cmp_lt_i32_e32 vcc_lo, 5, v7
	v_cndmask_b32_e64 v8, 0, 1, vcc_lo
	v_cmp_eq_u32_e32 vcc_lo, 3, v7
	v_cndmask_b32_e64 v7, 0, 1, vcc_lo
	v_cmp_ne_u32_e32 vcc_lo, 0, v2
	v_or_b32_e32 v7, v7, v8
	v_mov_b32_e32 v8, 0x7e00
	v_add_nc_u32_e32 v3, v3, v7
	v_cndmask_b32_e32 v2, 0x7c00, v8, vcc_lo
	v_cmp_gt_i32_e32 vcc_lo, 31, v6
	v_cndmask_b32_e32 v3, 0x7c00, v3, vcc_lo
	v_cmp_eq_u32_e32 vcc_lo, 0x40f, v6
	v_cndmask_b32_e32 v2, v3, v2, vcc_lo
	v_lshrrev_b32_e32 v3, 16, v1
	v_and_or_b32 v2, 0x8000, v3, v2
	v_and_b32_e32 v2, 0xffff, v2
	global_store_dword v[4:5], v2, off
.LBB8_379:
	s_mov_b32 s18, 0
.LBB8_380:
	s_andn2_b32 vcc_lo, exec_lo, s18
	s_cbranch_vccnz .LBB8_389
; %bb.381:
	s_cmp_lt_i32 s16, 6
	s_mov_b32 s18, -1
	s_cbranch_scc1 .LBB8_387
; %bb.382:
	s_cmp_gt_i32 s16, 6
	s_cbranch_scc0 .LBB8_384
; %bb.383:
	s_mov_b32 s18, 0
	global_store_dwordx2 v[4:5], v[0:1], off
.LBB8_384:
	s_andn2_b32 vcc_lo, exec_lo, s18
	s_cbranch_vccnz .LBB8_386
; %bb.385:
	v_cvt_f32_f64_e32 v2, v[0:1]
	global_store_dword v[4:5], v2, off
.LBB8_386:
	s_mov_b32 s18, 0
.LBB8_387:
	s_andn2_b32 vcc_lo, exec_lo, s18
	s_cbranch_vccnz .LBB8_389
; %bb.388:
	v_and_or_b32 v2, 0x1ff, v1, v0
	v_lshrrev_b32_e32 v3, 8, v1
	v_bfe_u32 v6, v1, 20, 11
	v_cmp_ne_u32_e32 vcc_lo, 0, v2
	v_sub_nc_u32_e32 v7, 0x3f1, v6
	v_add_nc_u32_e32 v6, 0xfffffc10, v6
	v_cndmask_b32_e64 v2, 0, 1, vcc_lo
	v_and_or_b32 v2, 0xffe, v3, v2
	v_med3_i32 v3, v7, 0, 13
	v_or_b32_e32 v7, 0x1000, v2
	v_lshrrev_b32_e32 v8, v3, v7
	v_lshlrev_b32_e32 v3, v3, v8
	v_cmp_ne_u32_e32 vcc_lo, v3, v7
	v_lshl_or_b32 v7, v6, 12, v2
	v_cndmask_b32_e64 v3, 0, 1, vcc_lo
	v_cmp_gt_i32_e32 vcc_lo, 1, v6
	v_or_b32_e32 v3, v8, v3
	v_cndmask_b32_e32 v3, v7, v3, vcc_lo
	v_and_b32_e32 v7, 7, v3
	v_lshrrev_b32_e32 v3, 2, v3
	v_cmp_lt_i32_e32 vcc_lo, 5, v7
	v_cndmask_b32_e64 v8, 0, 1, vcc_lo
	v_cmp_eq_u32_e32 vcc_lo, 3, v7
	v_cndmask_b32_e64 v7, 0, 1, vcc_lo
	v_cmp_ne_u32_e32 vcc_lo, 0, v2
	v_or_b32_e32 v7, v7, v8
	v_mov_b32_e32 v8, 0x7e00
	v_add_nc_u32_e32 v3, v3, v7
	v_cndmask_b32_e32 v2, 0x7c00, v8, vcc_lo
	v_cmp_gt_i32_e32 vcc_lo, 31, v6
	v_cndmask_b32_e32 v3, 0x7c00, v3, vcc_lo
	v_cmp_eq_u32_e32 vcc_lo, 0x40f, v6
	v_cndmask_b32_e32 v2, v3, v2, vcc_lo
	v_lshrrev_b32_e32 v3, 16, v1
	v_and_or_b32 v2, 0x8000, v3, v2
	global_store_short v[4:5], v2, off
.LBB8_389:
	s_mov_b32 s18, 0
.LBB8_390:
	s_andn2_b32 vcc_lo, exec_lo, s18
	s_cbranch_vccnz .LBB8_406
; %bb.391:
	s_cmp_lt_i32 s16, 2
	s_mov_b32 s18, -1
	s_cbranch_scc1 .LBB8_401
; %bb.392:
	s_cmp_lt_i32 s16, 3
	s_cbranch_scc1 .LBB8_398
; %bb.393:
	s_cmp_gt_i32 s16, 3
	s_cbranch_scc0 .LBB8_395
; %bb.394:
	v_trunc_f64_e32 v[2:3], v[0:1]
	s_mov_b32 s18, 0
	v_ldexp_f64 v[6:7], v[2:3], 0xffffffe0
	v_floor_f64_e32 v[6:7], v[6:7]
	v_fma_f64 v[2:3], 0xc1f00000, v[6:7], v[2:3]
	v_cvt_i32_f64_e32 v7, v[6:7]
	v_cvt_u32_f64_e32 v6, v[2:3]
	global_store_dwordx2 v[4:5], v[6:7], off
.LBB8_395:
	s_andn2_b32 vcc_lo, exec_lo, s18
	s_cbranch_vccnz .LBB8_397
; %bb.396:
	v_cvt_i32_f64_e32 v2, v[0:1]
	global_store_dword v[4:5], v2, off
.LBB8_397:
	s_mov_b32 s18, 0
.LBB8_398:
	s_andn2_b32 vcc_lo, exec_lo, s18
	s_cbranch_vccnz .LBB8_400
; %bb.399:
	v_cvt_i32_f64_e32 v2, v[0:1]
	global_store_short v[4:5], v2, off
.LBB8_400:
	s_mov_b32 s18, 0
.LBB8_401:
	s_andn2_b32 vcc_lo, exec_lo, s18
	s_cbranch_vccnz .LBB8_406
; %bb.402:
	s_cmp_gt_i32 s16, 0
	s_mov_b32 s16, -1
	s_cbranch_scc0 .LBB8_404
; %bb.403:
	v_cvt_i32_f64_e32 v2, v[0:1]
	s_mov_b32 s16, 0
	global_store_byte v[4:5], v2, off
.LBB8_404:
	s_andn2_b32 vcc_lo, exec_lo, s16
	s_cbranch_vccnz .LBB8_406
; %bb.405:
	v_trunc_f64_e32 v[0:1], v[0:1]
	v_ldexp_f64 v[2:3], v[0:1], 0xffffffe0
	v_floor_f64_e32 v[2:3], v[2:3]
	v_fma_f64 v[0:1], 0xc1f00000, v[2:3], v[0:1]
	v_cvt_u32_f64_e32 v0, v[0:1]
	global_store_byte v[4:5], v0, off
.LBB8_406:
	s_mov_b32 s19, -1
.LBB8_407:
	s_andn2_b32 vcc_lo, exec_lo, s19
	s_cbranch_vccnz .LBB8_409
; %bb.408:
	v_add_nc_u32_e32 v10, 0x80, v10
	s_mov_b32 s18, -1
	s_branch .LBB8_522
.LBB8_409:
	s_mov_b32 s18, 0
	s_branch .LBB8_521
.LBB8_410:
	s_mov_b32 s15, -1
                                        ; implicit-def: $vgpr2_vgpr3
.LBB8_411:
	s_mov_b32 s18, 0
.LBB8_412:
	s_and_b32 vcc_lo, exec_lo, s18
	s_cbranch_vccz .LBB8_416
; %bb.413:
	s_cmp_eq_u32 s0, 29
	s_cbranch_scc0 .LBB8_415
; %bb.414:
	global_load_dwordx2 v[2:3], v[0:1], off
	s_mov_b32 s16, -1
	s_mov_b32 s15, 0
	s_mov_b32 s18, 0
	s_waitcnt vmcnt(0)
	v_cvt_f64_u32_e32 v[3:4], v3
	v_cvt_f64_u32_e32 v[5:6], v2
	v_ldexp_f64 v[3:4], v[3:4], 32
	v_add_f64 v[2:3], v[3:4], v[5:6]
	s_branch .LBB8_417
.LBB8_415:
	s_mov_b32 s15, -1
                                        ; implicit-def: $vgpr2_vgpr3
.LBB8_416:
	s_mov_b32 s18, 0
.LBB8_417:
	s_and_b32 vcc_lo, exec_lo, s18
	s_cbranch_vccz .LBB8_437
; %bb.418:
	s_cmp_lt_i32 s0, 27
	s_cbranch_scc1 .LBB8_421
; %bb.419:
	s_cmp_gt_i32 s0, 27
	s_cbranch_scc0 .LBB8_422
; %bb.420:
	global_load_dword v2, v[0:1], off
	s_mov_b32 s16, 0
	s_waitcnt vmcnt(0)
	v_cvt_f64_u32_e32 v[2:3], v2
	s_branch .LBB8_423
.LBB8_421:
	s_mov_b32 s16, -1
                                        ; implicit-def: $vgpr2_vgpr3
	s_branch .LBB8_426
.LBB8_422:
	s_mov_b32 s16, -1
                                        ; implicit-def: $vgpr2_vgpr3
.LBB8_423:
	s_andn2_b32 vcc_lo, exec_lo, s16
	s_cbranch_vccnz .LBB8_425
; %bb.424:
	global_load_ushort v2, v[0:1], off
	s_waitcnt vmcnt(0)
	v_cvt_f64_u32_e32 v[2:3], v2
.LBB8_425:
	s_mov_b32 s16, 0
.LBB8_426:
	s_andn2_b32 vcc_lo, exec_lo, s16
	s_cbranch_vccnz .LBB8_436
; %bb.427:
	global_load_ubyte v4, v[0:1], off
	s_mov_b32 s16, 0
	s_mov_b32 s18, exec_lo
	s_waitcnt vmcnt(0)
	v_cmpx_lt_i16_e32 0x7f, v4
	s_xor_b32 s18, exec_lo, s18
	s_cbranch_execz .LBB8_431
; %bb.428:
	s_mov_b32 s16, -1
	s_mov_b32 s19, exec_lo
	v_cmpx_eq_u16_e32 0x80, v4
; %bb.429:
	s_xor_b32 s16, exec_lo, -1
; %bb.430:
	s_or_b32 exec_lo, exec_lo, s19
	s_and_b32 s16, s16, exec_lo
.LBB8_431:
	s_or_saveexec_b32 s18, s18
	v_bfrev_b32_e32 v2, 4
	v_mov_b32_e32 v3, 0x7ff80000
	s_xor_b32 exec_lo, exec_lo, s18
; %bb.432:
	v_cmp_ne_u16_e32 vcc_lo, 0, v4
	v_mov_b32_e32 v2, 0
	v_mov_b32_e32 v3, 0
	s_andn2_b32 s16, s16, exec_lo
	s_and_b32 s19, vcc_lo, exec_lo
	s_or_b32 s16, s16, s19
; %bb.433:
	s_or_b32 exec_lo, exec_lo, s18
	s_and_saveexec_b32 s18, s16
	s_cbranch_execz .LBB8_435
; %bb.434:
	v_and_b32_e32 v2, 0xffff, v4
	v_lshlrev_b32_e32 v4, 24, v4
	v_and_b32_e32 v3, 7, v2
	v_bfe_u32 v7, v2, 3, 4
	v_ffbh_u32_e32 v5, v3
	v_cmp_eq_u32_e32 vcc_lo, 0, v7
	v_min_u32_e32 v5, 32, v5
	v_subrev_nc_u32_e32 v6, 28, v5
	v_sub_nc_u32_e32 v5, 29, v5
	v_lshlrev_b32_e32 v2, v6, v2
	v_cndmask_b32_e32 v5, v7, v5, vcc_lo
	v_and_b32_e32 v2, 7, v2
	v_cndmask_b32_e32 v2, v3, v2, vcc_lo
	v_and_b32_e32 v3, 0x80000000, v4
	v_lshl_add_u32 v4, v5, 23, 0x3b800000
	v_lshlrev_b32_e32 v2, 20, v2
	v_or3_b32 v2, v3, v4, v2
	v_cvt_f64_f32_e32 v[2:3], v2
.LBB8_435:
	s_or_b32 exec_lo, exec_lo, s18
.LBB8_436:
	s_mov_b32 s16, -1
.LBB8_437:
	s_mov_b32 s18, 0
.LBB8_438:
	s_and_b32 vcc_lo, exec_lo, s18
	s_cbranch_vccz .LBB8_471
; %bb.439:
	s_cmp_gt_i32 s0, 22
	s_cbranch_scc0 .LBB8_451
; %bb.440:
	s_cmp_lt_i32 s0, 24
	s_cbranch_scc1 .LBB8_452
; %bb.441:
	s_cmp_gt_i32 s0, 24
	s_cbranch_scc0 .LBB8_453
; %bb.442:
	global_load_ubyte v4, v[0:1], off
	s_mov_b32 s16, 0
	s_mov_b32 s18, exec_lo
	s_waitcnt vmcnt(0)
	v_cmpx_lt_i16_e32 0x7f, v4
	s_xor_b32 s18, exec_lo, s18
	s_cbranch_execz .LBB8_446
; %bb.443:
	s_mov_b32 s16, -1
	s_mov_b32 s19, exec_lo
	v_cmpx_eq_u16_e32 0x80, v4
; %bb.444:
	s_xor_b32 s16, exec_lo, -1
; %bb.445:
	s_or_b32 exec_lo, exec_lo, s19
	s_and_b32 s16, s16, exec_lo
.LBB8_446:
	s_or_saveexec_b32 s18, s18
	v_bfrev_b32_e32 v2, 4
	v_mov_b32_e32 v3, 0x7ff80000
	s_xor_b32 exec_lo, exec_lo, s18
; %bb.447:
	v_cmp_ne_u16_e32 vcc_lo, 0, v4
	v_mov_b32_e32 v2, 0
	v_mov_b32_e32 v3, 0
	s_andn2_b32 s16, s16, exec_lo
	s_and_b32 s19, vcc_lo, exec_lo
	s_or_b32 s16, s16, s19
; %bb.448:
	s_or_b32 exec_lo, exec_lo, s18
	s_and_saveexec_b32 s18, s16
	s_cbranch_execz .LBB8_450
; %bb.449:
	v_and_b32_e32 v2, 0xffff, v4
	v_lshlrev_b32_e32 v4, 24, v4
	v_and_b32_e32 v3, 3, v2
	v_bfe_u32 v7, v2, 2, 5
	v_ffbh_u32_e32 v5, v3
	v_cmp_eq_u32_e32 vcc_lo, 0, v7
	v_min_u32_e32 v5, 32, v5
	v_subrev_nc_u32_e32 v6, 29, v5
	v_sub_nc_u32_e32 v5, 30, v5
	v_lshlrev_b32_e32 v2, v6, v2
	v_cndmask_b32_e32 v5, v7, v5, vcc_lo
	v_and_b32_e32 v2, 3, v2
	v_cndmask_b32_e32 v2, v3, v2, vcc_lo
	v_and_b32_e32 v3, 0x80000000, v4
	v_lshl_add_u32 v4, v5, 23, 0x37800000
	v_lshlrev_b32_e32 v2, 21, v2
	v_or3_b32 v2, v3, v4, v2
	v_cvt_f64_f32_e32 v[2:3], v2
.LBB8_450:
	s_or_b32 exec_lo, exec_lo, s18
	s_mov_b32 s16, 0
	s_branch .LBB8_454
.LBB8_451:
	s_mov_b32 s18, -1
                                        ; implicit-def: $vgpr2_vgpr3
	s_branch .LBB8_460
.LBB8_452:
	s_mov_b32 s16, -1
                                        ; implicit-def: $vgpr2_vgpr3
	s_branch .LBB8_457
.LBB8_453:
	s_mov_b32 s16, -1
                                        ; implicit-def: $vgpr2_vgpr3
.LBB8_454:
	s_and_b32 vcc_lo, exec_lo, s16
	s_cbranch_vccz .LBB8_456
; %bb.455:
	global_load_ubyte v2, v[0:1], off
	s_waitcnt vmcnt(0)
	v_lshlrev_b32_e32 v2, 24, v2
	v_and_b32_e32 v3, 0x7f000000, v2
	v_ffbh_u32_e32 v4, v3
	v_add_nc_u32_e32 v6, 0x1000000, v3
	v_cmp_ne_u32_e32 vcc_lo, 0, v3
	v_min_u32_e32 v4, 32, v4
	v_sub_nc_u32_e64 v4, v4, 4 clamp
	v_lshlrev_b32_e32 v5, v4, v3
	v_lshlrev_b32_e32 v4, 23, v4
	v_lshrrev_b32_e32 v5, 4, v5
	v_sub_nc_u32_e32 v4, v5, v4
	v_ashrrev_i32_e32 v5, 8, v6
	v_add_nc_u32_e32 v4, 0x3c000000, v4
	v_and_or_b32 v4, 0x7f800000, v5, v4
	v_cndmask_b32_e32 v3, 0, v4, vcc_lo
	v_and_or_b32 v2, 0x80000000, v2, v3
	v_cvt_f64_f32_e32 v[2:3], v2
.LBB8_456:
	s_mov_b32 s16, 0
.LBB8_457:
	s_andn2_b32 vcc_lo, exec_lo, s16
	s_cbranch_vccnz .LBB8_459
; %bb.458:
	global_load_ubyte v2, v[0:1], off
	s_waitcnt vmcnt(0)
	v_lshlrev_b32_e32 v3, 25, v2
	v_lshlrev_b16 v2, 8, v2
	v_lshrrev_b32_e32 v4, 4, v3
	v_and_or_b32 v5, 0x7f00, v2, 0.5
	v_cmp_gt_u32_e32 vcc_lo, 0x8000000, v3
	v_bfe_i32 v2, v2, 0, 16
	v_or_b32_e32 v4, 0x70000000, v4
	v_add_f32_e32 v5, -0.5, v5
	v_mul_f32_e32 v4, 0x7800000, v4
	v_cndmask_b32_e32 v3, v4, v5, vcc_lo
	v_and_or_b32 v2, 0x80000000, v2, v3
	v_cvt_f64_f32_e32 v[2:3], v2
.LBB8_459:
	s_mov_b32 s18, 0
	s_mov_b32 s16, -1
.LBB8_460:
	s_andn2_b32 vcc_lo, exec_lo, s18
	s_cbranch_vccnz .LBB8_471
; %bb.461:
	s_cmp_gt_i32 s0, 14
	s_cbranch_scc0 .LBB8_464
; %bb.462:
	s_cmp_eq_u32 s0, 15
	s_cbranch_scc0 .LBB8_465
; %bb.463:
	global_load_ushort v2, v[0:1], off
	s_mov_b32 s16, -1
	s_mov_b32 s15, 0
	s_waitcnt vmcnt(0)
	v_lshlrev_b32_e32 v2, 16, v2
	v_cvt_f64_f32_e32 v[2:3], v2
	s_branch .LBB8_466
.LBB8_464:
	s_mov_b32 s18, -1
                                        ; implicit-def: $vgpr2_vgpr3
	s_branch .LBB8_467
.LBB8_465:
	s_mov_b32 s15, -1
                                        ; implicit-def: $vgpr2_vgpr3
.LBB8_466:
	s_mov_b32 s18, 0
.LBB8_467:
	s_and_b32 vcc_lo, exec_lo, s18
	s_cbranch_vccz .LBB8_471
; %bb.468:
	s_cmp_eq_u32 s0, 11
	s_cbranch_scc0 .LBB8_470
; %bb.469:
	global_load_ubyte v2, v[0:1], off
	s_mov_b32 s15, 0
	s_mov_b32 s16, -1
	s_waitcnt vmcnt(0)
	v_cmp_ne_u16_e32 vcc_lo, 0, v2
	v_mov_b32_e32 v2, 0
	v_cndmask_b32_e64 v3, 0, 0x3ff00000, vcc_lo
	s_branch .LBB8_471
.LBB8_470:
	s_mov_b32 s15, -1
                                        ; implicit-def: $vgpr2_vgpr3
.LBB8_471:
	s_branch .LBB8_269
.LBB8_472:
	s_cmp_lt_i32 s0, 5
	s_cbranch_scc1 .LBB8_477
; %bb.473:
	s_cmp_lt_i32 s0, 8
	s_cbranch_scc1 .LBB8_478
; %bb.474:
	;; [unrolled: 3-line block ×3, first 2 shown]
	s_cmp_gt_i32 s0, 9
	s_cbranch_scc0 .LBB8_480
; %bb.476:
	global_load_dwordx2 v[2:3], v[0:1], off
	s_mov_b32 s16, 0
	s_branch .LBB8_481
.LBB8_477:
	s_mov_b32 s16, -1
                                        ; implicit-def: $vgpr2_vgpr3
	s_branch .LBB8_499
.LBB8_478:
	s_mov_b32 s16, -1
                                        ; implicit-def: $vgpr2_vgpr3
	s_branch .LBB8_487
.LBB8_479:
	s_mov_b32 s16, -1
                                        ; implicit-def: $vgpr2_vgpr3
	s_branch .LBB8_484
.LBB8_480:
	s_mov_b32 s16, -1
                                        ; implicit-def: $vgpr2_vgpr3
.LBB8_481:
	s_andn2_b32 vcc_lo, exec_lo, s16
	s_cbranch_vccnz .LBB8_483
; %bb.482:
	global_load_dword v2, v[0:1], off
	s_waitcnt vmcnt(0)
	v_cvt_f64_f32_e32 v[2:3], v2
.LBB8_483:
	s_mov_b32 s16, 0
.LBB8_484:
	s_andn2_b32 vcc_lo, exec_lo, s16
	s_cbranch_vccnz .LBB8_486
; %bb.485:
	global_load_dword v2, v[0:1], off
	s_waitcnt vmcnt(0)
	v_cvt_f32_f16_e32 v2, v2
	v_cvt_f64_f32_e32 v[2:3], v2
.LBB8_486:
	s_mov_b32 s16, 0
.LBB8_487:
	s_andn2_b32 vcc_lo, exec_lo, s16
	s_cbranch_vccnz .LBB8_498
; %bb.488:
	s_cmp_lt_i32 s0, 6
	s_cbranch_scc1 .LBB8_491
; %bb.489:
	s_cmp_gt_i32 s0, 6
	s_cbranch_scc0 .LBB8_492
; %bb.490:
	global_load_dwordx2 v[2:3], v[0:1], off
	s_mov_b32 s16, 0
	s_branch .LBB8_493
.LBB8_491:
	s_mov_b32 s16, -1
                                        ; implicit-def: $vgpr2_vgpr3
	s_branch .LBB8_496
.LBB8_492:
	s_mov_b32 s16, -1
                                        ; implicit-def: $vgpr2_vgpr3
.LBB8_493:
	s_andn2_b32 vcc_lo, exec_lo, s16
	s_cbranch_vccnz .LBB8_495
; %bb.494:
	global_load_dword v2, v[0:1], off
	s_waitcnt vmcnt(0)
	v_cvt_f64_f32_e32 v[2:3], v2
.LBB8_495:
	s_mov_b32 s16, 0
.LBB8_496:
	s_andn2_b32 vcc_lo, exec_lo, s16
	s_cbranch_vccnz .LBB8_498
; %bb.497:
	global_load_ushort v2, v[0:1], off
	s_waitcnt vmcnt(0)
	v_cvt_f32_f16_e32 v2, v2
	v_cvt_f64_f32_e32 v[2:3], v2
.LBB8_498:
	s_mov_b32 s16, 0
.LBB8_499:
	s_andn2_b32 vcc_lo, exec_lo, s16
	s_cbranch_vccnz .LBB8_519
; %bb.500:
	s_cmp_lt_i32 s0, 2
	s_cbranch_scc1 .LBB8_504
; %bb.501:
	s_cmp_lt_i32 s0, 3
	s_cbranch_scc1 .LBB8_505
; %bb.502:
	s_cmp_gt_i32 s0, 3
	s_cbranch_scc0 .LBB8_506
; %bb.503:
	global_load_dwordx2 v[2:3], v[0:1], off
	s_mov_b32 s16, 0
	s_waitcnt vmcnt(0)
	v_cvt_f64_i32_e32 v[3:4], v3
	v_cvt_f64_u32_e32 v[5:6], v2
	v_ldexp_f64 v[3:4], v[3:4], 32
	v_add_f64 v[2:3], v[3:4], v[5:6]
	s_branch .LBB8_507
.LBB8_504:
	s_mov_b32 s16, -1
                                        ; implicit-def: $vgpr2_vgpr3
	s_branch .LBB8_513
.LBB8_505:
	s_mov_b32 s16, -1
                                        ; implicit-def: $vgpr2_vgpr3
	s_branch .LBB8_510
.LBB8_506:
	s_mov_b32 s16, -1
                                        ; implicit-def: $vgpr2_vgpr3
.LBB8_507:
	s_andn2_b32 vcc_lo, exec_lo, s16
	s_cbranch_vccnz .LBB8_509
; %bb.508:
	global_load_dword v2, v[0:1], off
	s_waitcnt vmcnt(0)
	v_cvt_f64_i32_e32 v[2:3], v2
.LBB8_509:
	s_mov_b32 s16, 0
.LBB8_510:
	s_andn2_b32 vcc_lo, exec_lo, s16
	s_cbranch_vccnz .LBB8_512
; %bb.511:
	global_load_sshort v2, v[0:1], off
	s_waitcnt vmcnt(0)
	v_cvt_f64_i32_e32 v[2:3], v2
.LBB8_512:
	s_mov_b32 s16, 0
.LBB8_513:
	s_andn2_b32 vcc_lo, exec_lo, s16
	s_cbranch_vccnz .LBB8_519
; %bb.514:
	s_cmp_gt_i32 s0, 0
	s_mov_b32 s0, 0
	s_cbranch_scc0 .LBB8_516
; %bb.515:
	global_load_sbyte v2, v[0:1], off
	s_waitcnt vmcnt(0)
	v_cvt_f64_i32_e32 v[2:3], v2
	s_branch .LBB8_517
.LBB8_516:
	s_mov_b32 s0, -1
                                        ; implicit-def: $vgpr2_vgpr3
.LBB8_517:
	s_andn2_b32 vcc_lo, exec_lo, s0
	s_cbranch_vccnz .LBB8_519
; %bb.518:
	global_load_ubyte v0, v[0:1], off
	s_waitcnt vmcnt(0)
	v_cvt_f64_u32_e32 v[2:3], v0
.LBB8_519:
	s_branch .LBB8_270
.LBB8_520:
	s_mov_b32 s18, 0
	s_mov_b32 s0, s7
.LBB8_521:
                                        ; implicit-def: $vgpr10
.LBB8_522:
	s_andn2_b32 s16, s7, exec_lo
	s_and_b32 s0, s0, exec_lo
	s_andn2_b32 s19, s13, exec_lo
	s_and_b32 s15, s15, exec_lo
	s_or_b32 s16, s16, s0
	s_or_b32 s15, s19, s15
	s_orn2_b32 s0, s18, exec_lo
.LBB8_523:
	s_or_b32 exec_lo, exec_lo, s17
	s_mov_b32 s18, 0
	s_mov_b32 s19, 0
	;; [unrolled: 1-line block ×3, first 2 shown]
                                        ; implicit-def: $vgpr0_vgpr1
                                        ; implicit-def: $vgpr2_vgpr3
	s_and_saveexec_b32 s17, s0
	s_cbranch_execz .LBB8_874
; %bb.524:
	s_mov_b32 s20, -1
	s_mov_b32 s0, s15
	s_mov_b32 s19, s16
	s_mov_b32 s18, exec_lo
	v_cmpx_gt_i32_e64 s12, v10
	s_cbranch_execz .LBB8_788
; %bb.525:
	v_mul_lo_u32 v0, v10, s3
	s_and_b32 s0, 0xffff, s5
	s_cmp_lt_i32 s0, 11
	v_ashrrev_i32_e32 v1, 31, v0
	v_add_co_u32 v0, vcc_lo, s10, v0
	v_add_co_ci_u32_e64 v1, null, s11, v1, vcc_lo
	s_cbranch_scc1 .LBB8_532
; %bb.526:
	s_cmp_gt_i32 s0, 25
	s_cbranch_scc0 .LBB8_533
; %bb.527:
	s_cmp_gt_i32 s0, 28
	s_cbranch_scc0 .LBB8_534
	;; [unrolled: 3-line block ×4, first 2 shown]
; %bb.530:
	s_cmp_eq_u32 s0, 46
	s_mov_b32 s21, 0
	s_cbranch_scc0 .LBB8_541
; %bb.531:
	global_load_dword v2, v[0:1], off
	s_mov_b32 s19, 0
	s_waitcnt vmcnt(0)
	v_lshlrev_b32_e32 v2, 16, v2
	v_cvt_f64_f32_e32 v[2:3], v2
	s_branch .LBB8_543
.LBB8_532:
	s_mov_b32 s21, -1
	s_mov_b32 s20, 0
	s_mov_b32 s19, s15
                                        ; implicit-def: $vgpr2_vgpr3
	s_branch .LBB8_608
.LBB8_533:
	s_mov_b32 s21, -1
	s_mov_b32 s20, 0
	s_mov_b32 s19, s15
                                        ; implicit-def: $vgpr2_vgpr3
	s_branch .LBB8_574
.LBB8_534:
	s_mov_b32 s21, -1
	s_mov_b32 s20, 0
	s_mov_b32 s19, s15
                                        ; implicit-def: $vgpr2_vgpr3
	s_branch .LBB8_553
.LBB8_535:
	s_mov_b32 s21, -1
	s_mov_b32 s20, 0
	s_mov_b32 s19, s15
                                        ; implicit-def: $vgpr2_vgpr3
	s_branch .LBB8_548
.LBB8_536:
	s_andn2_saveexec_b32 s21, s21
	s_cbranch_execz .LBB8_320
.LBB8_537:
	v_add_f32_e64 v3, 0x46000000, |v2|
	s_andn2_b32 s20, s20, exec_lo
	v_and_b32_e32 v3, 0xff, v3
	v_cmp_ne_u32_e32 vcc_lo, 0, v3
	s_and_b32 s22, vcc_lo, exec_lo
	s_or_b32 s20, s20, s22
	s_or_b32 exec_lo, exec_lo, s21
	v_mov_b32_e32 v6, 0
	s_and_saveexec_b32 s21, s20
	s_cbranch_execnz .LBB8_321
	s_branch .LBB8_322
.LBB8_538:
	s_mov_b32 s21, -1
	s_mov_b32 s20, 0
	s_mov_b32 s19, s15
	s_branch .LBB8_542
.LBB8_539:
	s_andn2_saveexec_b32 s21, s21
	s_cbranch_execz .LBB8_333
.LBB8_540:
	v_add_f32_e64 v3, 0x42800000, |v2|
	s_andn2_b32 s20, s20, exec_lo
	v_and_b32_e32 v3, 0xff, v3
	v_cmp_ne_u32_e32 vcc_lo, 0, v3
	s_and_b32 s22, vcc_lo, exec_lo
	s_or_b32 s20, s20, s22
	s_or_b32 exec_lo, exec_lo, s21
	v_mov_b32_e32 v6, 0
	s_and_saveexec_b32 s21, s20
	s_cbranch_execnz .LBB8_334
	s_branch .LBB8_335
.LBB8_541:
	s_mov_b32 s19, -1
	s_mov_b32 s20, 0
.LBB8_542:
                                        ; implicit-def: $vgpr2_vgpr3
.LBB8_543:
	s_and_b32 vcc_lo, exec_lo, s21
	s_cbranch_vccz .LBB8_547
; %bb.544:
	s_cmp_eq_u32 s0, 44
	s_cbranch_scc0 .LBB8_546
; %bb.545:
	global_load_ubyte v4, v[0:1], off
	s_mov_b32 s19, 0
	s_mov_b32 s20, -1
	s_waitcnt vmcnt(0)
	v_lshlrev_b32_e32 v2, 23, v4
	v_cmp_ne_u32_e32 vcc_lo, 0xff, v4
	v_cvt_f64_f32_e32 v[2:3], v2
	v_cndmask_b32_e32 v2, 0x20000000, v2, vcc_lo
	v_cndmask_b32_e32 v3, 0x7ff80000, v3, vcc_lo
	v_cmp_ne_u32_e32 vcc_lo, 0, v4
	v_cndmask_b32_e32 v3, 0x38000000, v3, vcc_lo
	v_cndmask_b32_e32 v2, 0, v2, vcc_lo
	s_branch .LBB8_547
.LBB8_546:
	s_mov_b32 s19, -1
                                        ; implicit-def: $vgpr2_vgpr3
.LBB8_547:
	s_mov_b32 s21, 0
.LBB8_548:
	s_and_b32 vcc_lo, exec_lo, s21
	s_cbranch_vccz .LBB8_552
; %bb.549:
	s_cmp_eq_u32 s0, 29
	s_cbranch_scc0 .LBB8_551
; %bb.550:
	global_load_dwordx2 v[2:3], v[0:1], off
	s_mov_b32 s20, -1
	s_mov_b32 s19, 0
	s_mov_b32 s21, 0
	s_waitcnt vmcnt(0)
	v_cvt_f64_u32_e32 v[3:4], v3
	v_cvt_f64_u32_e32 v[5:6], v2
	v_ldexp_f64 v[3:4], v[3:4], 32
	v_add_f64 v[2:3], v[3:4], v[5:6]
	s_branch .LBB8_553
.LBB8_551:
	s_mov_b32 s19, -1
                                        ; implicit-def: $vgpr2_vgpr3
.LBB8_552:
	s_mov_b32 s21, 0
.LBB8_553:
	s_and_b32 vcc_lo, exec_lo, s21
	s_cbranch_vccz .LBB8_573
; %bb.554:
	s_cmp_lt_i32 s0, 27
	s_cbranch_scc1 .LBB8_557
; %bb.555:
	s_cmp_gt_i32 s0, 27
	s_cbranch_scc0 .LBB8_558
; %bb.556:
	global_load_dword v2, v[0:1], off
	s_mov_b32 s20, 0
	s_waitcnt vmcnt(0)
	v_cvt_f64_u32_e32 v[2:3], v2
	s_branch .LBB8_559
.LBB8_557:
	s_mov_b32 s20, -1
                                        ; implicit-def: $vgpr2_vgpr3
	s_branch .LBB8_562
.LBB8_558:
	s_mov_b32 s20, -1
                                        ; implicit-def: $vgpr2_vgpr3
.LBB8_559:
	s_andn2_b32 vcc_lo, exec_lo, s20
	s_cbranch_vccnz .LBB8_561
; %bb.560:
	global_load_ushort v2, v[0:1], off
	s_waitcnt vmcnt(0)
	v_cvt_f64_u32_e32 v[2:3], v2
.LBB8_561:
	s_mov_b32 s20, 0
.LBB8_562:
	s_andn2_b32 vcc_lo, exec_lo, s20
	s_cbranch_vccnz .LBB8_572
; %bb.563:
	global_load_ubyte v4, v[0:1], off
	s_mov_b32 s20, 0
	s_mov_b32 s21, exec_lo
	s_waitcnt vmcnt(0)
	v_cmpx_lt_i16_e32 0x7f, v4
	s_xor_b32 s21, exec_lo, s21
	s_cbranch_execz .LBB8_567
; %bb.564:
	s_mov_b32 s20, -1
	s_mov_b32 s22, exec_lo
	v_cmpx_eq_u16_e32 0x80, v4
; %bb.565:
	s_xor_b32 s20, exec_lo, -1
; %bb.566:
	s_or_b32 exec_lo, exec_lo, s22
	s_and_b32 s20, s20, exec_lo
.LBB8_567:
	s_or_saveexec_b32 s21, s21
	v_bfrev_b32_e32 v2, 4
	v_mov_b32_e32 v3, 0x7ff80000
	s_xor_b32 exec_lo, exec_lo, s21
; %bb.568:
	v_cmp_ne_u16_e32 vcc_lo, 0, v4
	v_mov_b32_e32 v2, 0
	v_mov_b32_e32 v3, 0
	s_andn2_b32 s20, s20, exec_lo
	s_and_b32 s22, vcc_lo, exec_lo
	s_or_b32 s20, s20, s22
; %bb.569:
	s_or_b32 exec_lo, exec_lo, s21
	s_and_saveexec_b32 s21, s20
	s_cbranch_execz .LBB8_571
; %bb.570:
	v_and_b32_e32 v2, 0xffff, v4
	v_lshlrev_b32_e32 v4, 24, v4
	v_and_b32_e32 v3, 7, v2
	v_bfe_u32 v7, v2, 3, 4
	v_ffbh_u32_e32 v5, v3
	v_cmp_eq_u32_e32 vcc_lo, 0, v7
	v_min_u32_e32 v5, 32, v5
	v_subrev_nc_u32_e32 v6, 28, v5
	v_sub_nc_u32_e32 v5, 29, v5
	v_lshlrev_b32_e32 v2, v6, v2
	v_cndmask_b32_e32 v5, v7, v5, vcc_lo
	v_and_b32_e32 v2, 7, v2
	v_cndmask_b32_e32 v2, v3, v2, vcc_lo
	v_and_b32_e32 v3, 0x80000000, v4
	v_lshl_add_u32 v4, v5, 23, 0x3b800000
	v_lshlrev_b32_e32 v2, 20, v2
	v_or3_b32 v2, v3, v4, v2
	v_cvt_f64_f32_e32 v[2:3], v2
.LBB8_571:
	s_or_b32 exec_lo, exec_lo, s21
.LBB8_572:
	s_mov_b32 s20, -1
.LBB8_573:
	s_mov_b32 s21, 0
.LBB8_574:
	s_and_b32 vcc_lo, exec_lo, s21
	s_cbranch_vccz .LBB8_607
; %bb.575:
	s_cmp_gt_i32 s0, 22
	s_cbranch_scc0 .LBB8_587
; %bb.576:
	s_cmp_lt_i32 s0, 24
	s_cbranch_scc1 .LBB8_588
; %bb.577:
	s_cmp_gt_i32 s0, 24
	s_cbranch_scc0 .LBB8_589
; %bb.578:
	global_load_ubyte v4, v[0:1], off
	s_mov_b32 s20, 0
	s_mov_b32 s21, exec_lo
	s_waitcnt vmcnt(0)
	v_cmpx_lt_i16_e32 0x7f, v4
	s_xor_b32 s21, exec_lo, s21
	s_cbranch_execz .LBB8_582
; %bb.579:
	s_mov_b32 s20, -1
	s_mov_b32 s22, exec_lo
	v_cmpx_eq_u16_e32 0x80, v4
; %bb.580:
	s_xor_b32 s20, exec_lo, -1
; %bb.581:
	s_or_b32 exec_lo, exec_lo, s22
	s_and_b32 s20, s20, exec_lo
.LBB8_582:
	s_or_saveexec_b32 s21, s21
	v_bfrev_b32_e32 v2, 4
	v_mov_b32_e32 v3, 0x7ff80000
	s_xor_b32 exec_lo, exec_lo, s21
; %bb.583:
	v_cmp_ne_u16_e32 vcc_lo, 0, v4
	v_mov_b32_e32 v2, 0
	v_mov_b32_e32 v3, 0
	s_andn2_b32 s20, s20, exec_lo
	s_and_b32 s22, vcc_lo, exec_lo
	s_or_b32 s20, s20, s22
; %bb.584:
	s_or_b32 exec_lo, exec_lo, s21
	s_and_saveexec_b32 s21, s20
	s_cbranch_execz .LBB8_586
; %bb.585:
	v_and_b32_e32 v2, 0xffff, v4
	v_lshlrev_b32_e32 v4, 24, v4
	v_and_b32_e32 v3, 3, v2
	v_bfe_u32 v7, v2, 2, 5
	v_ffbh_u32_e32 v5, v3
	v_cmp_eq_u32_e32 vcc_lo, 0, v7
	v_min_u32_e32 v5, 32, v5
	v_subrev_nc_u32_e32 v6, 29, v5
	v_sub_nc_u32_e32 v5, 30, v5
	v_lshlrev_b32_e32 v2, v6, v2
	v_cndmask_b32_e32 v5, v7, v5, vcc_lo
	v_and_b32_e32 v2, 3, v2
	v_cndmask_b32_e32 v2, v3, v2, vcc_lo
	v_and_b32_e32 v3, 0x80000000, v4
	v_lshl_add_u32 v4, v5, 23, 0x37800000
	v_lshlrev_b32_e32 v2, 21, v2
	v_or3_b32 v2, v3, v4, v2
	v_cvt_f64_f32_e32 v[2:3], v2
.LBB8_586:
	s_or_b32 exec_lo, exec_lo, s21
	s_mov_b32 s20, 0
	s_branch .LBB8_590
.LBB8_587:
	s_mov_b32 s21, -1
                                        ; implicit-def: $vgpr2_vgpr3
	s_branch .LBB8_596
.LBB8_588:
	s_mov_b32 s20, -1
                                        ; implicit-def: $vgpr2_vgpr3
	s_branch .LBB8_593
.LBB8_589:
	s_mov_b32 s20, -1
                                        ; implicit-def: $vgpr2_vgpr3
.LBB8_590:
	s_and_b32 vcc_lo, exec_lo, s20
	s_cbranch_vccz .LBB8_592
; %bb.591:
	global_load_ubyte v2, v[0:1], off
	s_waitcnt vmcnt(0)
	v_lshlrev_b32_e32 v2, 24, v2
	v_and_b32_e32 v3, 0x7f000000, v2
	v_ffbh_u32_e32 v4, v3
	v_add_nc_u32_e32 v6, 0x1000000, v3
	v_cmp_ne_u32_e32 vcc_lo, 0, v3
	v_min_u32_e32 v4, 32, v4
	v_sub_nc_u32_e64 v4, v4, 4 clamp
	v_lshlrev_b32_e32 v5, v4, v3
	v_lshlrev_b32_e32 v4, 23, v4
	v_lshrrev_b32_e32 v5, 4, v5
	v_sub_nc_u32_e32 v4, v5, v4
	v_ashrrev_i32_e32 v5, 8, v6
	v_add_nc_u32_e32 v4, 0x3c000000, v4
	v_and_or_b32 v4, 0x7f800000, v5, v4
	v_cndmask_b32_e32 v3, 0, v4, vcc_lo
	v_and_or_b32 v2, 0x80000000, v2, v3
	v_cvt_f64_f32_e32 v[2:3], v2
.LBB8_592:
	s_mov_b32 s20, 0
.LBB8_593:
	s_andn2_b32 vcc_lo, exec_lo, s20
	s_cbranch_vccnz .LBB8_595
; %bb.594:
	global_load_ubyte v2, v[0:1], off
	s_waitcnt vmcnt(0)
	v_lshlrev_b32_e32 v3, 25, v2
	v_lshlrev_b16 v2, 8, v2
	v_lshrrev_b32_e32 v4, 4, v3
	v_and_or_b32 v5, 0x7f00, v2, 0.5
	v_cmp_gt_u32_e32 vcc_lo, 0x8000000, v3
	v_bfe_i32 v2, v2, 0, 16
	v_or_b32_e32 v4, 0x70000000, v4
	v_add_f32_e32 v5, -0.5, v5
	v_mul_f32_e32 v4, 0x7800000, v4
	v_cndmask_b32_e32 v3, v4, v5, vcc_lo
	v_and_or_b32 v2, 0x80000000, v2, v3
	v_cvt_f64_f32_e32 v[2:3], v2
.LBB8_595:
	s_mov_b32 s21, 0
	s_mov_b32 s20, -1
.LBB8_596:
	s_andn2_b32 vcc_lo, exec_lo, s21
	s_cbranch_vccnz .LBB8_607
; %bb.597:
	s_cmp_gt_i32 s0, 14
	s_cbranch_scc0 .LBB8_600
; %bb.598:
	s_cmp_eq_u32 s0, 15
	s_cbranch_scc0 .LBB8_601
; %bb.599:
	global_load_ushort v2, v[0:1], off
	s_mov_b32 s20, -1
	s_mov_b32 s19, 0
	s_waitcnt vmcnt(0)
	v_lshlrev_b32_e32 v2, 16, v2
	v_cvt_f64_f32_e32 v[2:3], v2
	s_branch .LBB8_602
.LBB8_600:
	s_mov_b32 s21, -1
                                        ; implicit-def: $vgpr2_vgpr3
	s_branch .LBB8_603
.LBB8_601:
	s_mov_b32 s19, -1
                                        ; implicit-def: $vgpr2_vgpr3
.LBB8_602:
	s_mov_b32 s21, 0
.LBB8_603:
	s_and_b32 vcc_lo, exec_lo, s21
	s_cbranch_vccz .LBB8_607
; %bb.604:
	s_cmp_eq_u32 s0, 11
	s_cbranch_scc0 .LBB8_606
; %bb.605:
	global_load_ubyte v2, v[0:1], off
	s_mov_b32 s19, 0
	s_mov_b32 s20, -1
	s_waitcnt vmcnt(0)
	v_cmp_ne_u16_e32 vcc_lo, 0, v2
	v_mov_b32_e32 v2, 0
	v_cndmask_b32_e64 v3, 0, 0x3ff00000, vcc_lo
	s_branch .LBB8_607
.LBB8_606:
	s_mov_b32 s19, -1
                                        ; implicit-def: $vgpr2_vgpr3
.LBB8_607:
	s_mov_b32 s21, 0
.LBB8_608:
	s_and_b32 vcc_lo, exec_lo, s21
	s_cbranch_vccz .LBB8_657
; %bb.609:
	s_cmp_lt_i32 s0, 5
	s_cbranch_scc1 .LBB8_614
; %bb.610:
	s_cmp_lt_i32 s0, 8
	s_cbranch_scc1 .LBB8_615
	;; [unrolled: 3-line block ×3, first 2 shown]
; %bb.612:
	s_cmp_gt_i32 s0, 9
	s_cbranch_scc0 .LBB8_617
; %bb.613:
	global_load_dwordx2 v[2:3], v[0:1], off
	s_mov_b32 s20, 0
	s_branch .LBB8_618
.LBB8_614:
	s_mov_b32 s20, -1
                                        ; implicit-def: $vgpr2_vgpr3
	s_branch .LBB8_636
.LBB8_615:
	s_mov_b32 s20, -1
                                        ; implicit-def: $vgpr2_vgpr3
	s_branch .LBB8_624
.LBB8_616:
	s_mov_b32 s20, -1
                                        ; implicit-def: $vgpr2_vgpr3
	s_branch .LBB8_621
.LBB8_617:
	s_mov_b32 s20, -1
                                        ; implicit-def: $vgpr2_vgpr3
.LBB8_618:
	s_andn2_b32 vcc_lo, exec_lo, s20
	s_cbranch_vccnz .LBB8_620
; %bb.619:
	global_load_dword v2, v[0:1], off
	s_waitcnt vmcnt(0)
	v_cvt_f64_f32_e32 v[2:3], v2
.LBB8_620:
	s_mov_b32 s20, 0
.LBB8_621:
	s_andn2_b32 vcc_lo, exec_lo, s20
	s_cbranch_vccnz .LBB8_623
; %bb.622:
	global_load_dword v2, v[0:1], off
	s_waitcnt vmcnt(0)
	v_cvt_f32_f16_e32 v2, v2
	v_cvt_f64_f32_e32 v[2:3], v2
.LBB8_623:
	s_mov_b32 s20, 0
.LBB8_624:
	s_andn2_b32 vcc_lo, exec_lo, s20
	s_cbranch_vccnz .LBB8_635
; %bb.625:
	s_cmp_lt_i32 s0, 6
	s_cbranch_scc1 .LBB8_628
; %bb.626:
	s_cmp_gt_i32 s0, 6
	s_cbranch_scc0 .LBB8_629
; %bb.627:
	global_load_dwordx2 v[2:3], v[0:1], off
	s_mov_b32 s20, 0
	s_branch .LBB8_630
.LBB8_628:
	s_mov_b32 s20, -1
                                        ; implicit-def: $vgpr2_vgpr3
	s_branch .LBB8_633
.LBB8_629:
	s_mov_b32 s20, -1
                                        ; implicit-def: $vgpr2_vgpr3
.LBB8_630:
	s_andn2_b32 vcc_lo, exec_lo, s20
	s_cbranch_vccnz .LBB8_632
; %bb.631:
	global_load_dword v2, v[0:1], off
	s_waitcnt vmcnt(0)
	v_cvt_f64_f32_e32 v[2:3], v2
.LBB8_632:
	s_mov_b32 s20, 0
.LBB8_633:
	s_andn2_b32 vcc_lo, exec_lo, s20
	s_cbranch_vccnz .LBB8_635
; %bb.634:
	global_load_ushort v2, v[0:1], off
	s_waitcnt vmcnt(0)
	v_cvt_f32_f16_e32 v2, v2
	v_cvt_f64_f32_e32 v[2:3], v2
.LBB8_635:
	s_mov_b32 s20, 0
.LBB8_636:
	s_andn2_b32 vcc_lo, exec_lo, s20
	s_cbranch_vccnz .LBB8_656
; %bb.637:
	s_cmp_lt_i32 s0, 2
	s_cbranch_scc1 .LBB8_641
; %bb.638:
	s_cmp_lt_i32 s0, 3
	s_cbranch_scc1 .LBB8_642
; %bb.639:
	s_cmp_gt_i32 s0, 3
	s_cbranch_scc0 .LBB8_643
; %bb.640:
	global_load_dwordx2 v[2:3], v[0:1], off
	s_mov_b32 s20, 0
	s_waitcnt vmcnt(0)
	v_cvt_f64_i32_e32 v[3:4], v3
	v_cvt_f64_u32_e32 v[5:6], v2
	v_ldexp_f64 v[3:4], v[3:4], 32
	v_add_f64 v[2:3], v[3:4], v[5:6]
	s_branch .LBB8_644
.LBB8_641:
	s_mov_b32 s20, -1
                                        ; implicit-def: $vgpr2_vgpr3
	s_branch .LBB8_650
.LBB8_642:
	s_mov_b32 s20, -1
                                        ; implicit-def: $vgpr2_vgpr3
	s_branch .LBB8_647
.LBB8_643:
	s_mov_b32 s20, -1
                                        ; implicit-def: $vgpr2_vgpr3
.LBB8_644:
	s_andn2_b32 vcc_lo, exec_lo, s20
	s_cbranch_vccnz .LBB8_646
; %bb.645:
	global_load_dword v2, v[0:1], off
	s_waitcnt vmcnt(0)
	v_cvt_f64_i32_e32 v[2:3], v2
.LBB8_646:
	s_mov_b32 s20, 0
.LBB8_647:
	s_andn2_b32 vcc_lo, exec_lo, s20
	s_cbranch_vccnz .LBB8_649
; %bb.648:
	global_load_sshort v2, v[0:1], off
	s_waitcnt vmcnt(0)
	v_cvt_f64_i32_e32 v[2:3], v2
.LBB8_649:
	s_mov_b32 s20, 0
.LBB8_650:
	s_andn2_b32 vcc_lo, exec_lo, s20
	s_cbranch_vccnz .LBB8_656
; %bb.651:
	s_cmp_gt_i32 s0, 0
	s_mov_b32 s0, 0
	s_cbranch_scc0 .LBB8_653
; %bb.652:
	global_load_sbyte v2, v[0:1], off
	s_waitcnt vmcnt(0)
	v_cvt_f64_i32_e32 v[2:3], v2
	s_branch .LBB8_654
.LBB8_653:
	s_mov_b32 s0, -1
                                        ; implicit-def: $vgpr2_vgpr3
.LBB8_654:
	s_andn2_b32 vcc_lo, exec_lo, s0
	s_cbranch_vccnz .LBB8_656
; %bb.655:
	global_load_ubyte v0, v[0:1], off
	s_waitcnt vmcnt(0)
	v_cvt_f64_u32_e32 v[2:3], v0
.LBB8_656:
	s_mov_b32 s20, -1
.LBB8_657:
	s_andn2_b32 vcc_lo, exec_lo, s20
	s_cbranch_vccnz .LBB8_669
; %bb.658:
	s_waitcnt vmcnt(0)
	v_cmp_ge_f64_e64 s0, 0x40200000, |v[2:3]|
                                        ; implicit-def: $vgpr0_vgpr1
	s_and_saveexec_b32 s20, s0
	s_xor_b32 s0, exec_lo, s20
	s_cbranch_execz .LBB8_660
; %bb.659:
	v_fma_f64 v[0:1], |v[2:3]|, 0.5, -2.0
	s_mov_b32 s20, 0x977da589
	s_mov_b32 s21, 0x3c833362
	;; [unrolled: 1-line block ×4, first 2 shown]
	v_fma_f64 v[4:5], v[0:1], s[22:23], s[20:21]
	s_mov_b32 s23, 0x3c545cb7
	s_mov_b32 s20, 0x721ebbb4
	;; [unrolled: 1-line block ×3, first 2 shown]
	v_fma_f64 v[6:7], v[0:1], v[4:5], s[22:23]
	s_mov_b32 s22, 0x3b39803f
	s_mov_b32 s23, 0xbc7abc9e
	v_add_f64 v[6:7], v[6:7], s[20:21]
	s_mov_b32 s20, 0x93f65eba
	s_mov_b32 s21, 0x3cdee6d8
	v_fma_f64 v[4:5], v[0:1], v[6:7], -v[4:5]
	v_add_f64 v[4:5], v[4:5], s[20:21]
	s_mov_b32 s20, 0xc297fbeb
	s_mov_b32 s21, 0xbd0a5022
	v_fma_f64 v[6:7], v[0:1], v[4:5], -v[6:7]
	;; [unrolled: 4-line block ×20, first 2 shown]
	v_add_f64 v[6:7], v[6:7], s[20:21]
	s_mov_b32 s20, 0x652b82fe
	s_mov_b32 s21, 0x3ff71547
	v_mul_f64 v[8:9], |v[2:3]|, s[20:21]
	s_mov_b32 s20, 0xf3dde3dd
	s_mov_b32 s21, 0x3f859961
	v_fma_f64 v[4:5], v[0:1], v[6:7], -v[4:5]
	v_rndne_f64_e32 v[8:9], v[8:9]
	v_add_f64 v[4:5], v[4:5], s[20:21]
	s_mov_b32 s20, 0xfefa39ef
	s_mov_b32 s21, 0xbfe62e42
	v_fma_f64 v[2:3], v[8:9], s[20:21], |v[2:3]|
	s_mov_b32 s20, 0xf121b6f0
	s_mov_b32 s21, 0xbf984e9e
	v_fma_f64 v[6:7], v[0:1], v[4:5], -v[6:7]
	v_fma_f64 v[2:3], v[8:9], s[22:23], v[2:3]
	s_mov_b32 s22, 0x6a5dcb37
	s_mov_b32 s23, 0x3e5ade15
	v_add_f64 v[6:7], v[6:7], s[20:21]
	s_mov_b32 s20, 0xfca7ab0c
	s_mov_b32 s21, 0x3e928af3
	v_fma_f64 v[11:12], v[2:3], s[22:23], s[20:21]
	s_mov_b32 s20, 0xcea8a32d
	s_mov_b32 s22, 0x623fde64
	;; [unrolled: 1-line block ×4, first 2 shown]
	v_fma_f64 v[4:5], v[0:1], v[6:7], -v[4:5]
	v_fma_f64 v[11:12], v[2:3], v[11:12], s[22:23]
	s_mov_b32 s22, 0x14761f6e
	s_mov_b32 s23, 0x3f2a01a0
	v_add_f64 v[4:5], v[4:5], s[20:21]
	s_mov_b32 s20, 0x7c89e6b0
	s_mov_b32 s21, 0x3efa0199
	v_fma_f64 v[11:12], v[2:3], v[11:12], s[20:21]
	s_mov_b32 s20, 0x342d06ea
	s_mov_b32 s21, 0xbfb84b70
	v_fma_f64 v[6:7], v[0:1], v[4:5], -v[6:7]
	v_fma_f64 v[11:12], v[2:3], v[11:12], s[22:23]
	s_mov_b32 s22, 0x11122322
	s_mov_b32 s23, 0x3f811111
	v_add_f64 v[6:7], v[6:7], s[20:21]
	s_mov_b32 s20, 0x1852b7b0
	s_mov_b32 s21, 0x3f56c16c
	v_fma_f64 v[11:12], v[2:3], v[11:12], s[20:21]
	s_mov_b32 s20, 0x77ac88c0
	s_mov_b32 s21, 0x3fc5f7ac
	;; [unrolled: 10-line block ×3, first 2 shown]
	v_fma_f64 v[6:7], v[0:1], v[4:5], -v[6:7]
	v_fma_f64 v[11:12], v[2:3], v[11:12], s[22:23]
	v_add_f64 v[6:7], v[6:7], s[20:21]
	s_mov_b32 s20, 11
	s_mov_b32 s21, 0x3fe00000
	v_fma_f64 v[11:12], v[2:3], v[11:12], s[20:21]
	s_mov_b32 s20, 0x9035a22a
	s_mov_b32 s21, 0x3fe5a84e
	v_fma_f64 v[0:1], v[0:1], v[6:7], -v[4:5]
	v_fma_f64 v[6:7], v[2:3], v[11:12], 1.0
	v_add_f64 v[0:1], v[0:1], s[20:21]
	v_fma_f64 v[2:3], v[2:3], v[6:7], 1.0
	v_cvt_i32_f64_e32 v6, v[8:9]
	v_add_f64 v[0:1], v[0:1], -v[4:5]
	v_ldexp_f64 v[2:3], v[2:3], v6
	v_mul_f64 v[0:1], v[0:1], 0.5
	v_mul_f64 v[0:1], v[2:3], v[0:1]
                                        ; implicit-def: $vgpr2_vgpr3
.LBB8_660:
	s_andn2_saveexec_b32 s20, s0
	s_cbranch_execz .LBB8_662
; %bb.661:
	v_and_b32_e32 v1, 0x7fffffff, v3
	v_mov_b32_e32 v0, v2
	s_mov_b32 s22, 0x66119130
	s_mov_b32 s23, 0xbc5646da
	;; [unrolled: 1-line block ×4, first 2 shown]
	v_div_scale_f64 v[4:5], null, v[0:1], v[0:1], 0x40400000
	v_div_scale_f64 v[0:1], vcc_lo, 0x40400000, v[0:1], 0x40400000
	v_cmp_gt_f64_e64 s0, 0x10000000, |v[2:3]|
	v_rcp_f64_e32 v[6:7], v[4:5]
	v_cndmask_b32_e64 v15, 0, 0x100, s0
	v_ldexp_f64 v[15:16], |v[2:3]|, v15
	v_fma_f64 v[8:9], -v[4:5], v[6:7], 1.0
	v_rsq_f64_e32 v[17:18], v[15:16]
	v_fma_f64 v[6:7], v[6:7], v[8:9], v[6:7]
	v_mul_f64 v[19:20], v[15:16], v[17:18]
	v_mul_f64 v[17:18], v[17:18], 0.5
	v_fma_f64 v[8:9], -v[4:5], v[6:7], 1.0
	v_fma_f64 v[21:22], -v[17:18], v[19:20], 0.5
	v_fma_f64 v[6:7], v[6:7], v[8:9], v[6:7]
	v_fma_f64 v[19:20], v[19:20], v[21:22], v[19:20]
	;; [unrolled: 1-line block ×3, first 2 shown]
	v_mul_f64 v[8:9], v[0:1], v[6:7]
	v_fma_f64 v[21:22], -v[19:20], v[19:20], v[15:16]
	v_fma_f64 v[0:1], -v[4:5], v[8:9], v[0:1]
	v_div_fmas_f64 v[0:1], v[0:1], v[6:7], v[8:9]
	v_cmp_nlt_f64_e64 vcc_lo, 0x40900000, |v[2:3]|
	v_div_fixup_f64 v[0:1], v[0:1], |v[2:3]|, 0x40400000
	v_add_f64 v[0:1], v[0:1], -2.0
	v_fma_f64 v[4:5], v[0:1], s[24:25], s[22:23]
	s_mov_b32 s25, 0x3c60adb7
	s_mov_b32 s22, 0x12d98421
	;; [unrolled: 1-line block ×3, first 2 shown]
	v_fma_f64 v[6:7], v[0:1], v[4:5], s[24:25]
	s_mov_b32 s24, 0x6a5dcb37
	s_mov_b32 s25, 0x3e5ade15
	v_add_f64 v[6:7], v[6:7], s[22:23]
	s_mov_b32 s22, 0x76041cd
	s_mov_b32 s23, 0x3c83f3dd
	v_fma_f64 v[4:5], v[0:1], v[6:7], -v[4:5]
	v_add_f64 v[4:5], v[4:5], s[22:23]
	s_mov_b32 s22, 0xabd21fe4
	s_mov_b32 s23, 0xbcb4600b
	v_fma_f64 v[6:7], v[0:1], v[4:5], -v[6:7]
	;; [unrolled: 4-line block ×15, first 2 shown]
	v_add_f64 v[4:5], v[4:5], s[22:23]
	s_mov_b32 s22, 0x652b82fe
	s_mov_b32 s23, 0x3ff71547
	v_mul_f64 v[8:9], |v[2:3]|, s[22:23]
	s_mov_b32 s22, 0xa9225b87
	s_mov_b32 s23, 0x3e2d2c64
	v_fma_f64 v[6:7], v[0:1], v[4:5], -v[6:7]
	v_rndne_f64_e32 v[8:9], v[8:9]
	v_add_f64 v[6:7], v[6:7], s[22:23]
	s_mov_b32 s22, 0xfefa39ef
	s_mov_b32 s23, 0xbfe62e42
	v_fma_f64 v[11:12], v[8:9], s[22:23], |v[2:3]|
	s_mov_b32 s22, 0x3b39803f
	s_mov_b32 s23, 0xbc7abc9e
	v_cndmask_b32_e64 v2, 0, 0xffffff80, s0
	v_cmp_class_f64_e64 s0, v[15:16], 0x260
	v_fma_f64 v[4:5], v[0:1], v[6:7], -v[4:5]
	v_fma_f64 v[11:12], v[8:9], s[22:23], v[11:12]
	s_mov_b32 s22, 0x80d6d56d
	s_mov_b32 s23, 0x3e585692
	v_add_f64 v[4:5], v[4:5], s[22:23]
	s_mov_b32 s22, 0xfca7ab0c
	s_mov_b32 s23, 0x3e928af3
	v_fma_f64 v[13:14], v[11:12], s[24:25], s[22:23]
	s_mov_b32 s22, 0x623fde64
	s_mov_b32 s23, 0x3ec71dee
	v_fma_f64 v[6:7], v[0:1], v[4:5], -v[6:7]
	v_fma_f64 v[13:14], v[11:12], v[13:14], s[22:23]
	s_mov_b32 s22, 0xd9cd616e
	s_mov_b32 s23, 0x3e8b8007
	v_add_f64 v[6:7], v[6:7], s[22:23]
	s_mov_b32 s22, 0x7c89e6b0
	s_mov_b32 s23, 0x3efa0199
	v_fma_f64 v[13:14], v[11:12], v[13:14], s[22:23]
	s_mov_b32 s22, 0x14761f6e
	s_mov_b32 s23, 0x3f2a01a0
	v_fma_f64 v[4:5], v[0:1], v[6:7], -v[4:5]
	v_fma_f64 v[13:14], v[11:12], v[13:14], s[22:23]
	s_mov_b32 s22, 0xc101c586
	s_mov_b32 s23, 0x3ec8412b
	v_add_f64 v[4:5], v[4:5], s[22:23]
	s_mov_b32 s22, 0x1852b7b0
	s_mov_b32 s23, 0x3f56c16c
	v_fma_f64 v[13:14], v[11:12], v[13:14], s[22:23]
	s_mov_b32 s22, 0x11122322
	s_mov_b32 s23, 0x3f811111
	v_fma_f64 v[6:7], v[0:1], v[4:5], -v[6:7]
	v_fma_f64 v[13:14], v[11:12], v[13:14], s[22:23]
	s_mov_b32 s22, 0x78999e52
	s_mov_b32 s23, 0x3f120fa3
	v_add_f64 v[6:7], v[6:7], s[22:23]
	s_mov_b32 s22, 0x555502a1
	s_mov_b32 s23, 0x3fa55555
	v_fma_f64 v[13:14], v[11:12], v[13:14], s[22:23]
	s_mov_b32 s22, 0x55555511
	s_mov_b32 s23, 0x3fc55555
	v_fma_f64 v[4:5], v[0:1], v[6:7], -v[4:5]
	v_fma_f64 v[13:14], v[11:12], v[13:14], s[22:23]
	s_mov_b32 s22, 0xa2e59049
	s_mov_b32 s23, 0x3f6b998c
	v_add_f64 v[4:5], v[4:5], s[22:23]
	s_mov_b32 s22, 11
	s_mov_b32 s23, 0x3fe00000
	v_fma_f64 v[13:14], v[11:12], v[13:14], s[22:23]
	s_mov_b32 s22, 0xaca809cb
	s_mov_b32 s23, 0x3fe9be62
	v_fma_f64 v[0:1], v[0:1], v[4:5], -v[6:7]
	v_fma_f64 v[4:5], v[21:22], v[17:18], v[19:20]
	v_cvt_i32_f64_e32 v21, v[8:9]
	v_fma_f64 v[13:14], v[11:12], v[13:14], 1.0
	v_add_f64 v[0:1], v[0:1], s[22:23]
	v_fma_f64 v[19:20], -v[4:5], v[4:5], v[15:16]
	v_fma_f64 v[8:9], v[11:12], v[13:14], 1.0
	v_add_f64 v[0:1], v[0:1], -v[6:7]
	v_fma_f64 v[4:5], v[19:20], v[17:18], v[4:5]
	v_ldexp_f64 v[6:7], v[8:9], v21
	v_mul_f64 v[0:1], v[0:1], 0.5
	v_ldexp_f64 v[2:3], v[4:5], v2
	v_cndmask_b32_e32 v5, 0x7ff00000, v7, vcc_lo
	v_cndmask_b32_e32 v4, 0, v6, vcc_lo
	v_mul_f64 v[0:1], v[4:5], v[0:1]
	v_cndmask_b32_e64 v3, v3, v16, s0
	v_cndmask_b32_e64 v2, v2, v15, s0
	v_div_scale_f64 v[4:5], null, v[2:3], v[2:3], v[0:1]
	v_rcp_f64_e32 v[6:7], v[4:5]
	v_fma_f64 v[8:9], -v[4:5], v[6:7], 1.0
	v_fma_f64 v[6:7], v[6:7], v[8:9], v[6:7]
	v_fma_f64 v[8:9], -v[4:5], v[6:7], 1.0
	v_fma_f64 v[6:7], v[6:7], v[8:9], v[6:7]
	v_div_scale_f64 v[8:9], vcc_lo, v[0:1], v[2:3], v[0:1]
	v_mul_f64 v[11:12], v[8:9], v[6:7]
	v_fma_f64 v[4:5], -v[4:5], v[11:12], v[8:9]
	v_div_fmas_f64 v[4:5], v[4:5], v[6:7], v[11:12]
	v_div_fixup_f64 v[0:1], v[4:5], v[2:3], v[0:1]
.LBB8_662:
	s_or_b32 exec_lo, exec_lo, s20
	v_mul_lo_u32 v2, v10, s2
	s_and_b32 s20, s1, 0xff
	s_cmp_lt_i32 s20, 11
	v_ashrrev_i32_e32 v3, 31, v2
	v_add_co_u32 v4, vcc_lo, s8, v2
	v_add_co_ci_u32_e64 v5, null, s9, v3, vcc_lo
	s_cbranch_scc1 .LBB8_670
; %bb.663:
	s_and_b32 s21, 0xffff, s20
	s_cmp_gt_i32 s21, 25
	s_cbranch_scc0 .LBB8_671
; %bb.664:
	s_cmp_gt_i32 s21, 28
	s_cbranch_scc0 .LBB8_672
; %bb.665:
	;; [unrolled: 3-line block ×4, first 2 shown]
	s_mov_b32 s23, 0
	s_mov_b32 s0, -1
	s_cmp_eq_u32 s21, 46
	s_mov_b32 s22, 0
	s_cbranch_scc0 .LBB8_675
; %bb.668:
	v_cvt_f32_f64_e32 v2, v[0:1]
	s_mov_b32 s22, -1
	s_mov_b32 s0, 0
	v_bfe_u32 v3, v2, 16, 1
	v_cmp_o_f32_e32 vcc_lo, v2, v2
	v_add3_u32 v2, v2, v3, 0x7fff
	v_mov_b32_e32 v3, 0x7fc0
	v_cndmask_b32_sdwa v2, v3, v2, vcc_lo dst_sel:DWORD dst_unused:UNUSED_PAD src0_sel:DWORD src1_sel:WORD_1
	global_store_dword v[4:5], v2, off
	s_branch .LBB8_675
.LBB8_669:
	s_mov_b32 s20, 0
	s_mov_b32 s0, s16
	s_branch .LBB8_786
.LBB8_670:
	s_mov_b32 s21, -1
	s_mov_b32 s22, 0
	s_mov_b32 s0, s16
	s_branch .LBB8_744
.LBB8_671:
	s_mov_b32 s23, -1
	s_mov_b32 s22, 0
	s_mov_b32 s0, s16
	s_branch .LBB8_702
.LBB8_672:
	s_mov_b32 s23, -1
	s_mov_b32 s22, 0
	s_mov_b32 s0, s16
	s_branch .LBB8_685
.LBB8_673:
	s_mov_b32 s23, -1
	s_mov_b32 s22, 0
	s_mov_b32 s0, s16
	s_branch .LBB8_681
.LBB8_674:
	s_mov_b32 s23, -1
	s_mov_b32 s22, 0
	s_mov_b32 s0, s16
.LBB8_675:
	s_and_b32 vcc_lo, exec_lo, s23
	s_cbranch_vccz .LBB8_680
; %bb.676:
	s_cmp_eq_u32 s21, 44
	s_mov_b32 s0, -1
	s_cbranch_scc0 .LBB8_680
; %bb.677:
	v_cvt_f32_f64_e32 v2, v[0:1]
	v_mov_b32_e32 v3, 0xff
	s_mov_b32 s22, exec_lo
	v_bfe_u32 v6, v2, 23, 8
	v_cmpx_ne_u32_e32 0xff, v6
	s_cbranch_execz .LBB8_679
; %bb.678:
	v_and_b32_e32 v3, 0x400000, v2
	v_and_or_b32 v6, 0x3fffff, v2, v6
	v_lshrrev_b32_e32 v2, 23, v2
	v_cmp_ne_u32_e32 vcc_lo, 0, v3
	v_cmp_ne_u32_e64 s0, 0, v6
	s_and_b32 s0, vcc_lo, s0
	v_cndmask_b32_e64 v3, 0, 1, s0
	v_add_nc_u32_e32 v3, v2, v3
.LBB8_679:
	s_or_b32 exec_lo, exec_lo, s22
	s_mov_b32 s22, -1
	s_mov_b32 s0, 0
	global_store_byte v[4:5], v3, off
.LBB8_680:
	s_mov_b32 s23, 0
.LBB8_681:
	s_and_b32 vcc_lo, exec_lo, s23
	s_cbranch_vccz .LBB8_684
; %bb.682:
	s_cmp_eq_u32 s21, 29
	s_mov_b32 s0, -1
	s_cbranch_scc0 .LBB8_684
; %bb.683:
	v_trunc_f64_e32 v[2:3], v[0:1]
	s_mov_b32 s22, -1
	s_mov_b32 s0, 0
	s_mov_b32 s23, 0
	v_ldexp_f64 v[6:7], v[2:3], 0xffffffe0
	v_floor_f64_e32 v[6:7], v[6:7]
	v_fma_f64 v[2:3], 0xc1f00000, v[6:7], v[2:3]
	v_cvt_u32_f64_e32 v7, v[6:7]
	v_cvt_u32_f64_e32 v6, v[2:3]
	global_store_dwordx2 v[4:5], v[6:7], off
	s_branch .LBB8_685
.LBB8_684:
	s_mov_b32 s23, 0
.LBB8_685:
	s_and_b32 vcc_lo, exec_lo, s23
	s_cbranch_vccz .LBB8_701
; %bb.686:
	s_cmp_lt_i32 s21, 27
	s_mov_b32 s22, -1
	s_cbranch_scc1 .LBB8_692
; %bb.687:
	v_cvt_u32_f64_e32 v2, v[0:1]
	s_cmp_gt_i32 s21, 27
	s_cbranch_scc0 .LBB8_689
; %bb.688:
	s_mov_b32 s22, 0
	global_store_dword v[4:5], v2, off
.LBB8_689:
	s_andn2_b32 vcc_lo, exec_lo, s22
	s_cbranch_vccnz .LBB8_691
; %bb.690:
	global_store_short v[4:5], v2, off
.LBB8_691:
	s_mov_b32 s22, 0
.LBB8_692:
	s_andn2_b32 vcc_lo, exec_lo, s22
	s_cbranch_vccnz .LBB8_700
; %bb.693:
	v_cvt_f32_f64_e32 v2, v[0:1]
	v_mov_b32_e32 v6, 0x80
	s_mov_b32 s22, exec_lo
	v_and_b32_e32 v3, 0x7fffffff, v2
	v_cmpx_gt_u32_e32 0x43800000, v3
	s_cbranch_execz .LBB8_699
; %bb.694:
	v_cmp_lt_u32_e32 vcc_lo, 0x3bffffff, v3
	s_mov_b32 s23, 0
                                        ; implicit-def: $vgpr3
	s_and_saveexec_b32 s24, vcc_lo
	s_xor_b32 s24, exec_lo, s24
	s_cbranch_execz .LBB8_801
; %bb.695:
	v_bfe_u32 v3, v2, 20, 1
	s_mov_b32 s23, exec_lo
	v_add3_u32 v3, v2, v3, 0x487ffff
	v_lshrrev_b32_e32 v3, 20, v3
	s_andn2_saveexec_b32 s24, s24
	s_cbranch_execnz .LBB8_802
.LBB8_696:
	s_or_b32 exec_lo, exec_lo, s24
	v_mov_b32_e32 v6, 0
	s_and_saveexec_b32 s24, s23
.LBB8_697:
	v_lshrrev_b32_e32 v2, 24, v2
	v_and_or_b32 v6, 0x80, v2, v3
.LBB8_698:
	s_or_b32 exec_lo, exec_lo, s24
.LBB8_699:
	s_or_b32 exec_lo, exec_lo, s22
	global_store_byte v[4:5], v6, off
.LBB8_700:
	s_mov_b32 s22, -1
.LBB8_701:
	s_mov_b32 s23, 0
.LBB8_702:
	s_and_b32 vcc_lo, exec_lo, s23
	s_cbranch_vccz .LBB8_743
; %bb.703:
	s_cmp_gt_i32 s21, 22
	s_mov_b32 s23, -1
	s_cbranch_scc0 .LBB8_735
; %bb.704:
	s_cmp_lt_i32 s21, 24
	s_mov_b32 s22, -1
	s_cbranch_scc1 .LBB8_724
; %bb.705:
	s_cmp_gt_i32 s21, 24
	s_cbranch_scc0 .LBB8_713
; %bb.706:
	v_cvt_f32_f64_e32 v2, v[0:1]
	v_mov_b32_e32 v6, 0x80
	s_mov_b32 s22, exec_lo
	v_and_b32_e32 v3, 0x7fffffff, v2
	v_cmpx_gt_u32_e32 0x47800000, v3
	s_cbranch_execz .LBB8_712
; %bb.707:
	v_cmp_lt_u32_e32 vcc_lo, 0x37ffffff, v3
	s_mov_b32 s23, 0
                                        ; implicit-def: $vgpr3
	s_and_saveexec_b32 s24, vcc_lo
	s_xor_b32 s24, exec_lo, s24
	s_cbranch_execz .LBB8_804
; %bb.708:
	v_bfe_u32 v3, v2, 21, 1
	s_mov_b32 s23, exec_lo
	v_add3_u32 v3, v2, v3, 0x88fffff
	v_lshrrev_b32_e32 v3, 21, v3
	s_andn2_saveexec_b32 s24, s24
	s_cbranch_execnz .LBB8_805
.LBB8_709:
	s_or_b32 exec_lo, exec_lo, s24
	v_mov_b32_e32 v6, 0
	s_and_saveexec_b32 s24, s23
.LBB8_710:
	v_lshrrev_b32_e32 v2, 24, v2
	v_and_or_b32 v6, 0x80, v2, v3
.LBB8_711:
	s_or_b32 exec_lo, exec_lo, s24
.LBB8_712:
	s_or_b32 exec_lo, exec_lo, s22
	s_mov_b32 s22, 0
	global_store_byte v[4:5], v6, off
.LBB8_713:
	s_and_b32 vcc_lo, exec_lo, s22
	s_cbranch_vccz .LBB8_723
; %bb.714:
	v_cvt_f32_f64_e32 v2, v[0:1]
	s_mov_b32 s22, exec_lo
                                        ; implicit-def: $vgpr3
	v_and_b32_e32 v6, 0x7fffffff, v2
	v_cmpx_gt_u32_e32 0x43f00000, v6
	s_xor_b32 s22, exec_lo, s22
	s_cbranch_execz .LBB8_720
; %bb.715:
	s_mov_b32 s23, exec_lo
                                        ; implicit-def: $vgpr3
	v_cmpx_lt_u32_e32 0x3c7fffff, v6
	s_xor_b32 s23, exec_lo, s23
; %bb.716:
	v_bfe_u32 v3, v2, 20, 1
	v_add3_u32 v3, v2, v3, 0x407ffff
	v_and_b32_e32 v6, 0xff00000, v3
	v_lshrrev_b32_e32 v3, 20, v3
	v_cmp_ne_u32_e32 vcc_lo, 0x7f00000, v6
	v_cndmask_b32_e32 v3, 0x7e, v3, vcc_lo
; %bb.717:
	s_andn2_saveexec_b32 s23, s23
; %bb.718:
	v_add_f32_e64 v3, 0x46800000, |v2|
; %bb.719:
	s_or_b32 exec_lo, exec_lo, s23
                                        ; implicit-def: $vgpr6
.LBB8_720:
	s_andn2_saveexec_b32 s22, s22
; %bb.721:
	v_mov_b32_e32 v3, 0x7f
	v_cmp_lt_u32_e32 vcc_lo, 0x7f800000, v6
	v_cndmask_b32_e32 v3, 0x7e, v3, vcc_lo
; %bb.722:
	s_or_b32 exec_lo, exec_lo, s22
	v_lshrrev_b32_e32 v2, 24, v2
	v_and_or_b32 v2, 0x80, v2, v3
	global_store_byte v[4:5], v2, off
.LBB8_723:
	s_mov_b32 s22, 0
.LBB8_724:
	s_andn2_b32 vcc_lo, exec_lo, s22
	s_cbranch_vccnz .LBB8_734
; %bb.725:
	v_cvt_f32_f64_e32 v2, v[0:1]
	s_mov_b32 s22, exec_lo
                                        ; implicit-def: $vgpr3
	v_and_b32_e32 v6, 0x7fffffff, v2
	v_cmpx_gt_u32_e32 0x47800000, v6
	s_xor_b32 s22, exec_lo, s22
	s_cbranch_execz .LBB8_731
; %bb.726:
	s_mov_b32 s23, exec_lo
                                        ; implicit-def: $vgpr3
	v_cmpx_lt_u32_e32 0x387fffff, v6
	s_xor_b32 s23, exec_lo, s23
; %bb.727:
	v_bfe_u32 v3, v2, 21, 1
	v_add3_u32 v3, v2, v3, 0x80fffff
	v_lshrrev_b32_e32 v3, 21, v3
; %bb.728:
	s_andn2_saveexec_b32 s23, s23
; %bb.729:
	v_add_f32_e64 v3, 0x43000000, |v2|
; %bb.730:
	s_or_b32 exec_lo, exec_lo, s23
                                        ; implicit-def: $vgpr6
.LBB8_731:
	s_andn2_saveexec_b32 s22, s22
; %bb.732:
	v_mov_b32_e32 v3, 0x7f
	v_cmp_lt_u32_e32 vcc_lo, 0x7f800000, v6
	v_cndmask_b32_e32 v3, 0x7c, v3, vcc_lo
; %bb.733:
	s_or_b32 exec_lo, exec_lo, s22
	v_lshrrev_b32_e32 v2, 24, v2
	v_and_or_b32 v2, 0x80, v2, v3
	global_store_byte v[4:5], v2, off
.LBB8_734:
	s_mov_b32 s23, 0
	s_mov_b32 s22, -1
.LBB8_735:
	s_andn2_b32 vcc_lo, exec_lo, s23
	s_cbranch_vccnz .LBB8_743
; %bb.736:
	s_cmp_gt_i32 s21, 14
	s_mov_b32 s23, -1
	s_cbranch_scc0 .LBB8_740
; %bb.737:
	s_cmp_eq_u32 s21, 15
	s_mov_b32 s0, -1
	s_cbranch_scc0 .LBB8_739
; %bb.738:
	v_cvt_f32_f64_e32 v2, v[0:1]
	s_mov_b32 s22, -1
	s_mov_b32 s0, 0
	v_bfe_u32 v3, v2, 16, 1
	v_cmp_o_f32_e32 vcc_lo, v2, v2
	v_add3_u32 v2, v2, v3, 0x7fff
	v_mov_b32_e32 v3, 0x7fc0
	v_cndmask_b32_sdwa v2, v3, v2, vcc_lo dst_sel:DWORD dst_unused:UNUSED_PAD src0_sel:DWORD src1_sel:WORD_1
	global_store_short v[4:5], v2, off
.LBB8_739:
	s_mov_b32 s23, 0
.LBB8_740:
	s_and_b32 vcc_lo, exec_lo, s23
	s_cbranch_vccz .LBB8_743
; %bb.741:
	s_cmp_eq_u32 s21, 11
	s_mov_b32 s0, -1
	s_cbranch_scc0 .LBB8_743
; %bb.742:
	v_cmp_neq_f64_e32 vcc_lo, 0, v[0:1]
	s_mov_b32 s22, -1
	s_mov_b32 s0, 0
	v_cndmask_b32_e64 v2, 0, 1, vcc_lo
	global_store_byte v[4:5], v2, off
.LBB8_743:
	s_mov_b32 s21, 0
.LBB8_744:
	s_and_b32 vcc_lo, exec_lo, s21
	s_cbranch_vccz .LBB8_783
; %bb.745:
	s_and_b32 s20, 0xffff, s20
	s_mov_b32 s21, -1
	s_cmp_lt_i32 s20, 5
	s_cbranch_scc1 .LBB8_766
; %bb.746:
	s_cmp_lt_i32 s20, 8
	s_cbranch_scc1 .LBB8_756
; %bb.747:
	;; [unrolled: 3-line block ×3, first 2 shown]
	s_cmp_gt_i32 s20, 9
	s_cbranch_scc0 .LBB8_750
; %bb.749:
	v_mov_b32_e32 v2, 0
	s_mov_b32 s21, 0
	v_mov_b32_e32 v3, v2
	global_store_dwordx4 v[4:5], v[0:3], off
.LBB8_750:
	s_andn2_b32 vcc_lo, exec_lo, s21
	s_cbranch_vccnz .LBB8_752
; %bb.751:
	v_cvt_f32_f64_e32 v2, v[0:1]
	v_mov_b32_e32 v3, 0
	global_store_dwordx2 v[4:5], v[2:3], off
.LBB8_752:
	s_mov_b32 s21, 0
.LBB8_753:
	s_andn2_b32 vcc_lo, exec_lo, s21
	s_cbranch_vccnz .LBB8_755
; %bb.754:
	v_and_or_b32 v2, 0x1ff, v1, v0
	v_lshrrev_b32_e32 v3, 8, v1
	v_bfe_u32 v6, v1, 20, 11
	v_cmp_ne_u32_e32 vcc_lo, 0, v2
	v_sub_nc_u32_e32 v7, 0x3f1, v6
	v_add_nc_u32_e32 v6, 0xfffffc10, v6
	v_cndmask_b32_e64 v2, 0, 1, vcc_lo
	v_and_or_b32 v2, 0xffe, v3, v2
	v_med3_i32 v3, v7, 0, 13
	v_or_b32_e32 v7, 0x1000, v2
	v_lshrrev_b32_e32 v8, v3, v7
	v_lshlrev_b32_e32 v3, v3, v8
	v_cmp_ne_u32_e32 vcc_lo, v3, v7
	v_lshl_or_b32 v7, v6, 12, v2
	v_cndmask_b32_e64 v3, 0, 1, vcc_lo
	v_cmp_gt_i32_e32 vcc_lo, 1, v6
	v_or_b32_e32 v3, v8, v3
	v_cndmask_b32_e32 v3, v7, v3, vcc_lo
	v_and_b32_e32 v7, 7, v3
	v_lshrrev_b32_e32 v3, 2, v3
	v_cmp_lt_i32_e32 vcc_lo, 5, v7
	v_cndmask_b32_e64 v8, 0, 1, vcc_lo
	v_cmp_eq_u32_e32 vcc_lo, 3, v7
	v_cndmask_b32_e64 v7, 0, 1, vcc_lo
	v_cmp_ne_u32_e32 vcc_lo, 0, v2
	v_or_b32_e32 v7, v7, v8
	v_mov_b32_e32 v8, 0x7e00
	v_add_nc_u32_e32 v3, v3, v7
	v_cndmask_b32_e32 v2, 0x7c00, v8, vcc_lo
	v_cmp_gt_i32_e32 vcc_lo, 31, v6
	v_cndmask_b32_e32 v3, 0x7c00, v3, vcc_lo
	v_cmp_eq_u32_e32 vcc_lo, 0x40f, v6
	v_cndmask_b32_e32 v2, v3, v2, vcc_lo
	v_lshrrev_b32_e32 v3, 16, v1
	v_and_or_b32 v2, 0x8000, v3, v2
	v_and_b32_e32 v2, 0xffff, v2
	global_store_dword v[4:5], v2, off
.LBB8_755:
	s_mov_b32 s21, 0
.LBB8_756:
	s_andn2_b32 vcc_lo, exec_lo, s21
	s_cbranch_vccnz .LBB8_765
; %bb.757:
	s_cmp_lt_i32 s20, 6
	s_mov_b32 s21, -1
	s_cbranch_scc1 .LBB8_763
; %bb.758:
	s_cmp_gt_i32 s20, 6
	s_cbranch_scc0 .LBB8_760
; %bb.759:
	s_mov_b32 s21, 0
	global_store_dwordx2 v[4:5], v[0:1], off
.LBB8_760:
	s_andn2_b32 vcc_lo, exec_lo, s21
	s_cbranch_vccnz .LBB8_762
; %bb.761:
	v_cvt_f32_f64_e32 v2, v[0:1]
	global_store_dword v[4:5], v2, off
.LBB8_762:
	s_mov_b32 s21, 0
.LBB8_763:
	s_andn2_b32 vcc_lo, exec_lo, s21
	s_cbranch_vccnz .LBB8_765
; %bb.764:
	v_and_or_b32 v2, 0x1ff, v1, v0
	v_lshrrev_b32_e32 v3, 8, v1
	v_bfe_u32 v6, v1, 20, 11
	v_cmp_ne_u32_e32 vcc_lo, 0, v2
	v_sub_nc_u32_e32 v7, 0x3f1, v6
	v_add_nc_u32_e32 v6, 0xfffffc10, v6
	v_cndmask_b32_e64 v2, 0, 1, vcc_lo
	v_and_or_b32 v2, 0xffe, v3, v2
	v_med3_i32 v3, v7, 0, 13
	v_or_b32_e32 v7, 0x1000, v2
	v_lshrrev_b32_e32 v8, v3, v7
	v_lshlrev_b32_e32 v3, v3, v8
	v_cmp_ne_u32_e32 vcc_lo, v3, v7
	v_lshl_or_b32 v7, v6, 12, v2
	v_cndmask_b32_e64 v3, 0, 1, vcc_lo
	v_cmp_gt_i32_e32 vcc_lo, 1, v6
	v_or_b32_e32 v3, v8, v3
	v_cndmask_b32_e32 v3, v7, v3, vcc_lo
	v_and_b32_e32 v7, 7, v3
	v_lshrrev_b32_e32 v3, 2, v3
	v_cmp_lt_i32_e32 vcc_lo, 5, v7
	v_cndmask_b32_e64 v8, 0, 1, vcc_lo
	v_cmp_eq_u32_e32 vcc_lo, 3, v7
	v_cndmask_b32_e64 v7, 0, 1, vcc_lo
	v_cmp_ne_u32_e32 vcc_lo, 0, v2
	v_or_b32_e32 v7, v7, v8
	v_mov_b32_e32 v8, 0x7e00
	v_add_nc_u32_e32 v3, v3, v7
	v_cndmask_b32_e32 v2, 0x7c00, v8, vcc_lo
	v_cmp_gt_i32_e32 vcc_lo, 31, v6
	v_cndmask_b32_e32 v3, 0x7c00, v3, vcc_lo
	v_cmp_eq_u32_e32 vcc_lo, 0x40f, v6
	v_cndmask_b32_e32 v2, v3, v2, vcc_lo
	v_lshrrev_b32_e32 v3, 16, v1
	v_and_or_b32 v2, 0x8000, v3, v2
	global_store_short v[4:5], v2, off
.LBB8_765:
	s_mov_b32 s21, 0
.LBB8_766:
	s_andn2_b32 vcc_lo, exec_lo, s21
	s_cbranch_vccnz .LBB8_782
; %bb.767:
	s_cmp_lt_i32 s20, 2
	s_mov_b32 s21, -1
	s_cbranch_scc1 .LBB8_777
; %bb.768:
	s_cmp_lt_i32 s20, 3
	s_cbranch_scc1 .LBB8_774
; %bb.769:
	s_cmp_gt_i32 s20, 3
	s_cbranch_scc0 .LBB8_771
; %bb.770:
	v_trunc_f64_e32 v[2:3], v[0:1]
	s_mov_b32 s21, 0
	v_ldexp_f64 v[6:7], v[2:3], 0xffffffe0
	v_floor_f64_e32 v[6:7], v[6:7]
	v_fma_f64 v[2:3], 0xc1f00000, v[6:7], v[2:3]
	v_cvt_i32_f64_e32 v7, v[6:7]
	v_cvt_u32_f64_e32 v6, v[2:3]
	global_store_dwordx2 v[4:5], v[6:7], off
.LBB8_771:
	s_andn2_b32 vcc_lo, exec_lo, s21
	s_cbranch_vccnz .LBB8_773
; %bb.772:
	v_cvt_i32_f64_e32 v2, v[0:1]
	global_store_dword v[4:5], v2, off
.LBB8_773:
	s_mov_b32 s21, 0
.LBB8_774:
	s_andn2_b32 vcc_lo, exec_lo, s21
	s_cbranch_vccnz .LBB8_776
; %bb.775:
	v_cvt_i32_f64_e32 v2, v[0:1]
	global_store_short v[4:5], v2, off
.LBB8_776:
	s_mov_b32 s21, 0
.LBB8_777:
	s_andn2_b32 vcc_lo, exec_lo, s21
	s_cbranch_vccnz .LBB8_782
; %bb.778:
	s_cmp_gt_i32 s20, 0
	s_mov_b32 s20, -1
	s_cbranch_scc0 .LBB8_780
; %bb.779:
	v_cvt_i32_f64_e32 v2, v[0:1]
	s_mov_b32 s20, 0
	global_store_byte v[4:5], v2, off
.LBB8_780:
	s_andn2_b32 vcc_lo, exec_lo, s20
	s_cbranch_vccnz .LBB8_782
; %bb.781:
	v_trunc_f64_e32 v[0:1], v[0:1]
	v_ldexp_f64 v[2:3], v[0:1], 0xffffffe0
	v_floor_f64_e32 v[2:3], v[2:3]
	v_fma_f64 v[0:1], 0xc1f00000, v[2:3], v[0:1]
	v_cvt_u32_f64_e32 v0, v[0:1]
	global_store_byte v[4:5], v0, off
.LBB8_782:
	s_mov_b32 s22, -1
.LBB8_783:
	s_andn2_b32 vcc_lo, exec_lo, s22
	s_cbranch_vccnz .LBB8_785
; %bb.784:
	v_add_nc_u32_e32 v10, 0x80, v10
	s_mov_b32 s20, -1
	s_branch .LBB8_787
.LBB8_785:
	s_mov_b32 s20, 0
.LBB8_786:
                                        ; implicit-def: $vgpr10
.LBB8_787:
	s_andn2_b32 s21, s16, exec_lo
	s_and_b32 s0, s0, exec_lo
	s_andn2_b32 s22, s15, exec_lo
	s_and_b32 s23, s19, exec_lo
	s_or_b32 s19, s21, s0
	s_or_b32 s0, s22, s23
	s_orn2_b32 s20, s20, exec_lo
.LBB8_788:
	s_or_b32 exec_lo, exec_lo, s18
	s_mov_b32 s21, 0
	s_mov_b32 s22, 0
	;; [unrolled: 1-line block ×3, first 2 shown]
                                        ; implicit-def: $vgpr0_vgpr1
                                        ; implicit-def: $vgpr2_vgpr3
	s_and_saveexec_b32 s18, s20
	s_cbranch_execz .LBB8_873
; %bb.789:
	v_cmp_gt_i32_e32 vcc_lo, s12, v10
	s_mov_b32 s20, 0
	s_mov_b32 s21, s0
	;; [unrolled: 1-line block ×3, first 2 shown]
                                        ; implicit-def: $vgpr0_vgpr1
                                        ; implicit-def: $vgpr2_vgpr3
	s_and_saveexec_b32 s12, vcc_lo
	s_cbranch_execz .LBB8_872
; %bb.790:
	v_mul_lo_u32 v0, v10, s3
	s_and_b32 s20, 0xffff, s5
	s_cmp_lt_i32 s20, 11
	v_ashrrev_i32_e32 v1, 31, v0
	v_add_co_u32 v0, vcc_lo, s10, v0
	v_add_co_ci_u32_e64 v1, null, s11, v1, vcc_lo
	s_cbranch_scc1 .LBB8_797
; %bb.791:
	s_cmp_gt_i32 s20, 25
	s_cbranch_scc0 .LBB8_798
; %bb.792:
	s_cmp_gt_i32 s20, 28
	s_cbranch_scc0 .LBB8_799
	;; [unrolled: 3-line block ×4, first 2 shown]
; %bb.795:
	s_cmp_eq_u32 s20, 46
	s_cbranch_scc0 .LBB8_806
; %bb.796:
	global_load_dword v2, v[0:1], off
	s_mov_b32 s21, 0
	s_mov_b32 s23, -1
	s_waitcnt vmcnt(0)
	v_lshlrev_b32_e32 v2, 16, v2
	v_cvt_f64_f32_e32 v[2:3], v2
	s_branch .LBB8_808
.LBB8_797:
	s_mov_b32 s20, -1
	s_mov_b32 s21, s0
                                        ; implicit-def: $vgpr2_vgpr3
	s_branch .LBB8_871
.LBB8_798:
	s_mov_b32 s24, -1
	s_mov_b32 s21, s0
                                        ; implicit-def: $vgpr2_vgpr3
	s_branch .LBB8_839
.LBB8_799:
	s_mov_b32 s24, -1
	s_mov_b32 s21, s0
                                        ; implicit-def: $vgpr2_vgpr3
	s_branch .LBB8_818
.LBB8_800:
	s_mov_b32 s24, -1
	s_mov_b32 s21, s0
                                        ; implicit-def: $vgpr2_vgpr3
	s_branch .LBB8_813
.LBB8_801:
	s_andn2_saveexec_b32 s24, s24
	s_cbranch_execz .LBB8_696
.LBB8_802:
	v_add_f32_e64 v3, 0x46000000, |v2|
	s_andn2_b32 s23, s23, exec_lo
	v_and_b32_e32 v3, 0xff, v3
	v_cmp_ne_u32_e32 vcc_lo, 0, v3
	s_and_b32 s25, vcc_lo, exec_lo
	s_or_b32 s23, s23, s25
	s_or_b32 exec_lo, exec_lo, s24
	v_mov_b32_e32 v6, 0
	s_and_saveexec_b32 s24, s23
	s_cbranch_execnz .LBB8_697
	s_branch .LBB8_698
.LBB8_803:
	s_mov_b32 s24, -1
	s_mov_b32 s21, s0
	s_branch .LBB8_807
.LBB8_804:
	s_andn2_saveexec_b32 s24, s24
	s_cbranch_execz .LBB8_709
.LBB8_805:
	v_add_f32_e64 v3, 0x42800000, |v2|
	s_andn2_b32 s23, s23, exec_lo
	v_and_b32_e32 v3, 0xff, v3
	v_cmp_ne_u32_e32 vcc_lo, 0, v3
	s_and_b32 s25, vcc_lo, exec_lo
	s_or_b32 s23, s23, s25
	s_or_b32 exec_lo, exec_lo, s24
	v_mov_b32_e32 v6, 0
	s_and_saveexec_b32 s24, s23
	s_cbranch_execnz .LBB8_710
	s_branch .LBB8_711
.LBB8_806:
	s_mov_b32 s21, -1
.LBB8_807:
                                        ; implicit-def: $vgpr2_vgpr3
.LBB8_808:
	s_and_b32 vcc_lo, exec_lo, s24
	s_cbranch_vccz .LBB8_812
; %bb.809:
	s_cmp_eq_u32 s20, 44
	s_cbranch_scc0 .LBB8_811
; %bb.810:
	global_load_ubyte v4, v[0:1], off
	s_mov_b32 s21, 0
	s_mov_b32 s23, -1
	s_waitcnt vmcnt(0)
	v_lshlrev_b32_e32 v2, 23, v4
	v_cmp_ne_u32_e32 vcc_lo, 0xff, v4
	v_cvt_f64_f32_e32 v[2:3], v2
	v_cndmask_b32_e32 v2, 0x20000000, v2, vcc_lo
	v_cndmask_b32_e32 v3, 0x7ff80000, v3, vcc_lo
	v_cmp_ne_u32_e32 vcc_lo, 0, v4
	v_cndmask_b32_e32 v3, 0x38000000, v3, vcc_lo
	v_cndmask_b32_e32 v2, 0, v2, vcc_lo
	s_branch .LBB8_812
.LBB8_811:
	s_mov_b32 s21, -1
                                        ; implicit-def: $vgpr2_vgpr3
.LBB8_812:
	s_mov_b32 s24, 0
.LBB8_813:
	s_and_b32 vcc_lo, exec_lo, s24
	s_cbranch_vccz .LBB8_817
; %bb.814:
	s_cmp_eq_u32 s20, 29
	s_cbranch_scc0 .LBB8_816
; %bb.815:
	global_load_dwordx2 v[2:3], v[0:1], off
	s_mov_b32 s21, 0
	s_mov_b32 s23, -1
	s_mov_b32 s24, 0
	s_waitcnt vmcnt(0)
	v_cvt_f64_u32_e32 v[3:4], v3
	v_cvt_f64_u32_e32 v[5:6], v2
	v_ldexp_f64 v[3:4], v[3:4], 32
	v_add_f64 v[2:3], v[3:4], v[5:6]
	s_branch .LBB8_818
.LBB8_816:
	s_mov_b32 s21, -1
                                        ; implicit-def: $vgpr2_vgpr3
.LBB8_817:
	s_mov_b32 s24, 0
.LBB8_818:
	s_and_b32 vcc_lo, exec_lo, s24
	s_cbranch_vccz .LBB8_838
; %bb.819:
	s_cmp_lt_i32 s20, 27
	s_cbranch_scc1 .LBB8_822
; %bb.820:
	s_cmp_gt_i32 s20, 27
	s_cbranch_scc0 .LBB8_823
; %bb.821:
	global_load_dword v2, v[0:1], off
	s_mov_b32 s23, 0
	s_waitcnt vmcnt(0)
	v_cvt_f64_u32_e32 v[2:3], v2
	s_branch .LBB8_824
.LBB8_822:
	s_mov_b32 s23, -1
                                        ; implicit-def: $vgpr2_vgpr3
	s_branch .LBB8_827
.LBB8_823:
	s_mov_b32 s23, -1
                                        ; implicit-def: $vgpr2_vgpr3
.LBB8_824:
	s_andn2_b32 vcc_lo, exec_lo, s23
	s_cbranch_vccnz .LBB8_826
; %bb.825:
	global_load_ushort v2, v[0:1], off
	s_waitcnt vmcnt(0)
	v_cvt_f64_u32_e32 v[2:3], v2
.LBB8_826:
	s_mov_b32 s23, 0
.LBB8_827:
	s_andn2_b32 vcc_lo, exec_lo, s23
	s_cbranch_vccnz .LBB8_837
; %bb.828:
	global_load_ubyte v4, v[0:1], off
	s_mov_b32 s23, 0
	s_mov_b32 s24, exec_lo
	s_waitcnt vmcnt(0)
	v_cmpx_lt_i16_e32 0x7f, v4
	s_xor_b32 s24, exec_lo, s24
	s_cbranch_execz .LBB8_832
; %bb.829:
	s_mov_b32 s23, -1
	s_mov_b32 s25, exec_lo
	v_cmpx_eq_u16_e32 0x80, v4
; %bb.830:
	s_xor_b32 s23, exec_lo, -1
; %bb.831:
	s_or_b32 exec_lo, exec_lo, s25
	s_and_b32 s23, s23, exec_lo
.LBB8_832:
	s_or_saveexec_b32 s24, s24
	v_bfrev_b32_e32 v2, 4
	v_mov_b32_e32 v3, 0x7ff80000
	s_xor_b32 exec_lo, exec_lo, s24
; %bb.833:
	v_cmp_ne_u16_e32 vcc_lo, 0, v4
	v_mov_b32_e32 v2, 0
	v_mov_b32_e32 v3, 0
	s_andn2_b32 s23, s23, exec_lo
	s_and_b32 s25, vcc_lo, exec_lo
	s_or_b32 s23, s23, s25
; %bb.834:
	s_or_b32 exec_lo, exec_lo, s24
	s_and_saveexec_b32 s24, s23
	s_cbranch_execz .LBB8_836
; %bb.835:
	v_and_b32_e32 v2, 0xffff, v4
	v_lshlrev_b32_e32 v4, 24, v4
	v_and_b32_e32 v3, 7, v2
	v_bfe_u32 v7, v2, 3, 4
	v_ffbh_u32_e32 v5, v3
	v_cmp_eq_u32_e32 vcc_lo, 0, v7
	v_min_u32_e32 v5, 32, v5
	v_subrev_nc_u32_e32 v6, 28, v5
	v_sub_nc_u32_e32 v5, 29, v5
	v_lshlrev_b32_e32 v2, v6, v2
	v_cndmask_b32_e32 v5, v7, v5, vcc_lo
	v_and_b32_e32 v2, 7, v2
	v_cndmask_b32_e32 v2, v3, v2, vcc_lo
	v_and_b32_e32 v3, 0x80000000, v4
	v_lshl_add_u32 v4, v5, 23, 0x3b800000
	v_lshlrev_b32_e32 v2, 20, v2
	v_or3_b32 v2, v3, v4, v2
	v_cvt_f64_f32_e32 v[2:3], v2
.LBB8_836:
	s_or_b32 exec_lo, exec_lo, s24
.LBB8_837:
	s_mov_b32 s23, -1
.LBB8_838:
	s_mov_b32 s24, 0
.LBB8_839:
	s_and_b32 vcc_lo, exec_lo, s24
	s_cbranch_vccz .LBB8_870
; %bb.840:
	s_cmp_gt_i32 s20, 22
	s_cbranch_scc0 .LBB8_852
; %bb.841:
	s_cmp_lt_i32 s20, 24
	s_cbranch_scc1 .LBB8_853
; %bb.842:
	s_cmp_gt_i32 s20, 24
	s_cbranch_scc0 .LBB8_854
; %bb.843:
	global_load_ubyte v4, v[0:1], off
	s_mov_b32 s23, exec_lo
	s_waitcnt vmcnt(0)
	v_cmpx_lt_i16_e32 0x7f, v4
	s_xor_b32 s23, exec_lo, s23
	s_cbranch_execz .LBB8_847
; %bb.844:
	s_mov_b32 s22, -1
	s_mov_b32 s24, exec_lo
	v_cmpx_eq_u16_e32 0x80, v4
; %bb.845:
	s_xor_b32 s22, exec_lo, -1
; %bb.846:
	s_or_b32 exec_lo, exec_lo, s24
	s_and_b32 s22, s22, exec_lo
.LBB8_847:
	s_or_saveexec_b32 s23, s23
	v_bfrev_b32_e32 v2, 4
	v_mov_b32_e32 v3, 0x7ff80000
	s_xor_b32 exec_lo, exec_lo, s23
; %bb.848:
	v_cmp_ne_u16_e32 vcc_lo, 0, v4
	v_mov_b32_e32 v2, 0
	v_mov_b32_e32 v3, 0
	s_andn2_b32 s22, s22, exec_lo
	s_and_b32 s24, vcc_lo, exec_lo
	s_or_b32 s22, s22, s24
; %bb.849:
	s_or_b32 exec_lo, exec_lo, s23
	s_and_saveexec_b32 s23, s22
	s_cbranch_execz .LBB8_851
; %bb.850:
	v_and_b32_e32 v2, 0xffff, v4
	v_lshlrev_b32_e32 v4, 24, v4
	v_and_b32_e32 v3, 3, v2
	v_bfe_u32 v7, v2, 2, 5
	v_ffbh_u32_e32 v5, v3
	v_cmp_eq_u32_e32 vcc_lo, 0, v7
	v_min_u32_e32 v5, 32, v5
	v_subrev_nc_u32_e32 v6, 29, v5
	v_sub_nc_u32_e32 v5, 30, v5
	v_lshlrev_b32_e32 v2, v6, v2
	v_cndmask_b32_e32 v5, v7, v5, vcc_lo
	v_and_b32_e32 v2, 3, v2
	v_cndmask_b32_e32 v2, v3, v2, vcc_lo
	v_and_b32_e32 v3, 0x80000000, v4
	v_lshl_add_u32 v4, v5, 23, 0x37800000
	v_lshlrev_b32_e32 v2, 21, v2
	v_or3_b32 v2, v3, v4, v2
	v_cvt_f64_f32_e32 v[2:3], v2
.LBB8_851:
	s_or_b32 exec_lo, exec_lo, s23
	s_mov_b32 s22, 0
	s_branch .LBB8_855
.LBB8_852:
	s_mov_b32 s22, -1
                                        ; implicit-def: $vgpr2_vgpr3
	s_branch .LBB8_861
.LBB8_853:
	s_mov_b32 s22, -1
                                        ; implicit-def: $vgpr2_vgpr3
	s_branch .LBB8_858
.LBB8_854:
	s_mov_b32 s22, -1
                                        ; implicit-def: $vgpr2_vgpr3
.LBB8_855:
	s_and_b32 vcc_lo, exec_lo, s22
	s_cbranch_vccz .LBB8_857
; %bb.856:
	global_load_ubyte v2, v[0:1], off
	s_waitcnt vmcnt(0)
	v_lshlrev_b32_e32 v2, 24, v2
	v_and_b32_e32 v3, 0x7f000000, v2
	v_ffbh_u32_e32 v4, v3
	v_add_nc_u32_e32 v6, 0x1000000, v3
	v_cmp_ne_u32_e32 vcc_lo, 0, v3
	v_min_u32_e32 v4, 32, v4
	v_sub_nc_u32_e64 v4, v4, 4 clamp
	v_lshlrev_b32_e32 v5, v4, v3
	v_lshlrev_b32_e32 v4, 23, v4
	v_lshrrev_b32_e32 v5, 4, v5
	v_sub_nc_u32_e32 v4, v5, v4
	v_ashrrev_i32_e32 v5, 8, v6
	v_add_nc_u32_e32 v4, 0x3c000000, v4
	v_and_or_b32 v4, 0x7f800000, v5, v4
	v_cndmask_b32_e32 v3, 0, v4, vcc_lo
	v_and_or_b32 v2, 0x80000000, v2, v3
	v_cvt_f64_f32_e32 v[2:3], v2
.LBB8_857:
	s_mov_b32 s22, 0
.LBB8_858:
	s_andn2_b32 vcc_lo, exec_lo, s22
	s_cbranch_vccnz .LBB8_860
; %bb.859:
	global_load_ubyte v2, v[0:1], off
	s_waitcnt vmcnt(0)
	v_lshlrev_b32_e32 v3, 25, v2
	v_lshlrev_b16 v2, 8, v2
	v_lshrrev_b32_e32 v4, 4, v3
	v_and_or_b32 v5, 0x7f00, v2, 0.5
	v_cmp_gt_u32_e32 vcc_lo, 0x8000000, v3
	v_bfe_i32 v2, v2, 0, 16
	v_or_b32_e32 v4, 0x70000000, v4
	v_add_f32_e32 v5, -0.5, v5
	v_mul_f32_e32 v4, 0x7800000, v4
	v_cndmask_b32_e32 v3, v4, v5, vcc_lo
	v_and_or_b32 v2, 0x80000000, v2, v3
	v_cvt_f64_f32_e32 v[2:3], v2
.LBB8_860:
	s_mov_b32 s22, 0
	s_mov_b32 s23, -1
.LBB8_861:
	s_andn2_b32 vcc_lo, exec_lo, s22
	s_mov_b32 s22, 0
	s_cbranch_vccnz .LBB8_870
; %bb.862:
	s_cmp_gt_i32 s20, 14
	s_cbranch_scc0 .LBB8_865
; %bb.863:
	s_cmp_eq_u32 s20, 15
	s_cbranch_scc0 .LBB8_866
; %bb.864:
	global_load_ushort v2, v[0:1], off
	s_mov_b32 s21, 0
	s_mov_b32 s23, -1
	s_waitcnt vmcnt(0)
	v_lshlrev_b32_e32 v2, 16, v2
	v_cvt_f64_f32_e32 v[2:3], v2
	s_branch .LBB8_868
.LBB8_865:
	s_mov_b32 s22, -1
	s_branch .LBB8_867
.LBB8_866:
	s_mov_b32 s21, -1
.LBB8_867:
                                        ; implicit-def: $vgpr2_vgpr3
.LBB8_868:
	s_and_b32 vcc_lo, exec_lo, s22
	s_mov_b32 s22, 0
	s_cbranch_vccz .LBB8_870
; %bb.869:
	s_cmp_lg_u32 s20, 11
	s_mov_b32 s22, -1
	s_cselect_b32 s20, -1, 0
	s_andn2_b32 s21, s21, exec_lo
	s_and_b32 s20, s20, exec_lo
	s_or_b32 s21, s21, s20
.LBB8_870:
	s_mov_b32 s20, 0
.LBB8_871:
	s_andn2_b32 s25, s0, exec_lo
	s_and_b32 s21, s21, exec_lo
	s_and_b32 s23, s23, exec_lo
	;; [unrolled: 1-line block ×4, first 2 shown]
	s_or_b32 s21, s25, s21
.LBB8_872:
	s_or_b32 exec_lo, exec_lo, s12
	s_andn2_b32 s0, s0, exec_lo
	s_and_b32 s12, s21, exec_lo
	s_and_b32 s23, s23, exec_lo
	;; [unrolled: 1-line block ×4, first 2 shown]
	s_or_b32 s0, s0, s12
.LBB8_873:
	s_or_b32 exec_lo, exec_lo, s18
	s_andn2_b32 s12, s16, exec_lo
	s_and_b32 s16, s19, exec_lo
	s_and_b32 s0, s0, exec_lo
	s_or_b32 s16, s12, s16
	s_andn2_b32 s12, s15, exec_lo
	s_and_b32 s20, s23, exec_lo
	s_and_b32 s19, s22, exec_lo
	;; [unrolled: 1-line block ×3, first 2 shown]
	s_or_b32 s15, s12, s0
.LBB8_874:
	s_or_b32 exec_lo, exec_lo, s17
	s_andn2_b32 s0, s7, exec_lo
	s_and_b32 s7, s16, exec_lo
	s_andn2_b32 s12, s13, exec_lo
	s_and_b32 s13, s15, exec_lo
	s_or_b32 s7, s0, s7
	s_and_b32 s0, s20, exec_lo
	s_and_b32 s16, s19, exec_lo
	s_and_b32 s15, s18, exec_lo
	s_or_b32 s13, s12, s13
	s_or_b32 exec_lo, exec_lo, s14
	s_mov_b32 s12, 0
	s_and_saveexec_b32 s14, s13
	s_cbranch_execz .LBB8_266
.LBB8_875:
	s_mov_b32 s12, exec_lo
	s_andn2_b32 s15, s15, exec_lo
	s_trap 2
	s_or_b32 exec_lo, exec_lo, s14
	s_and_saveexec_b32 s13, s15
	s_xor_b32 s13, exec_lo, s13
	s_cbranch_execnz .LBB8_267
.LBB8_876:
	s_or_b32 exec_lo, exec_lo, s13
	s_and_saveexec_b32 s13, s16
	s_cbranch_execz .LBB8_922
.LBB8_877:
	s_sext_i32_i16 s14, s5
	s_cmp_lt_i32 s14, 5
	s_cbranch_scc1 .LBB8_882
; %bb.878:
	s_cmp_lt_i32 s14, 8
	s_cbranch_scc1 .LBB8_883
; %bb.879:
	;; [unrolled: 3-line block ×3, first 2 shown]
	s_cmp_gt_i32 s14, 9
	s_cbranch_scc0 .LBB8_885
; %bb.881:
	global_load_dwordx2 v[2:3], v[0:1], off
	s_mov_b32 s14, 0
	s_branch .LBB8_886
.LBB8_882:
                                        ; implicit-def: $vgpr2_vgpr3
	s_branch .LBB8_903
.LBB8_883:
                                        ; implicit-def: $vgpr2_vgpr3
	s_branch .LBB8_892
.LBB8_884:
	s_mov_b32 s14, -1
                                        ; implicit-def: $vgpr2_vgpr3
	s_branch .LBB8_889
.LBB8_885:
	s_mov_b32 s14, -1
                                        ; implicit-def: $vgpr2_vgpr3
.LBB8_886:
	s_andn2_b32 vcc_lo, exec_lo, s14
	s_cbranch_vccnz .LBB8_888
; %bb.887:
	global_load_dword v2, v[0:1], off
	s_waitcnt vmcnt(0)
	v_cvt_f64_f32_e32 v[2:3], v2
.LBB8_888:
	s_mov_b32 s14, 0
.LBB8_889:
	s_andn2_b32 vcc_lo, exec_lo, s14
	s_cbranch_vccnz .LBB8_891
; %bb.890:
	global_load_dword v2, v[0:1], off
	s_waitcnt vmcnt(0)
	v_cvt_f32_f16_e32 v2, v2
	v_cvt_f64_f32_e32 v[2:3], v2
.LBB8_891:
	s_cbranch_execnz .LBB8_902
.LBB8_892:
	s_sext_i32_i16 s14, s5
	s_cmp_lt_i32 s14, 6
	s_cbranch_scc1 .LBB8_895
; %bb.893:
	s_cmp_gt_i32 s14, 6
	s_cbranch_scc0 .LBB8_896
; %bb.894:
	global_load_dwordx2 v[2:3], v[0:1], off
	s_mov_b32 s14, 0
	s_branch .LBB8_897
.LBB8_895:
	s_mov_b32 s14, -1
                                        ; implicit-def: $vgpr2_vgpr3
	s_branch .LBB8_900
.LBB8_896:
	s_mov_b32 s14, -1
                                        ; implicit-def: $vgpr2_vgpr3
.LBB8_897:
	s_andn2_b32 vcc_lo, exec_lo, s14
	s_cbranch_vccnz .LBB8_899
; %bb.898:
	global_load_dword v2, v[0:1], off
	s_waitcnt vmcnt(0)
	v_cvt_f64_f32_e32 v[2:3], v2
.LBB8_899:
	s_mov_b32 s14, 0
.LBB8_900:
	s_andn2_b32 vcc_lo, exec_lo, s14
	s_cbranch_vccnz .LBB8_902
; %bb.901:
	global_load_ushort v2, v[0:1], off
	s_waitcnt vmcnt(0)
	v_cvt_f32_f16_e32 v2, v2
	v_cvt_f64_f32_e32 v[2:3], v2
.LBB8_902:
	s_cbranch_execnz .LBB8_921
.LBB8_903:
	s_sext_i32_i16 s14, s5
	s_cmp_lt_i32 s14, 2
	s_cbranch_scc1 .LBB8_907
; %bb.904:
	s_cmp_lt_i32 s14, 3
	s_cbranch_scc1 .LBB8_908
; %bb.905:
	s_cmp_gt_i32 s14, 3
	s_cbranch_scc0 .LBB8_909
; %bb.906:
	global_load_dwordx2 v[2:3], v[0:1], off
	s_mov_b32 s14, 0
	s_waitcnt vmcnt(0)
	v_cvt_f64_i32_e32 v[3:4], v3
	v_cvt_f64_u32_e32 v[5:6], v2
	v_ldexp_f64 v[3:4], v[3:4], 32
	v_add_f64 v[2:3], v[3:4], v[5:6]
	s_branch .LBB8_910
.LBB8_907:
                                        ; implicit-def: $vgpr2_vgpr3
	s_branch .LBB8_916
.LBB8_908:
	s_mov_b32 s14, -1
                                        ; implicit-def: $vgpr2_vgpr3
	s_branch .LBB8_913
.LBB8_909:
	s_mov_b32 s14, -1
                                        ; implicit-def: $vgpr2_vgpr3
.LBB8_910:
	s_andn2_b32 vcc_lo, exec_lo, s14
	s_cbranch_vccnz .LBB8_912
; %bb.911:
	global_load_dword v2, v[0:1], off
	s_waitcnt vmcnt(0)
	v_cvt_f64_i32_e32 v[2:3], v2
.LBB8_912:
	s_mov_b32 s14, 0
.LBB8_913:
	s_andn2_b32 vcc_lo, exec_lo, s14
	s_cbranch_vccnz .LBB8_915
; %bb.914:
	global_load_sshort v2, v[0:1], off
	s_waitcnt vmcnt(0)
	v_cvt_f64_i32_e32 v[2:3], v2
.LBB8_915:
	s_cbranch_execnz .LBB8_921
.LBB8_916:
	s_sext_i32_i16 s14, s5
	s_cmp_gt_i32 s14, 0
	s_mov_b32 s14, 0
	s_cbranch_scc0 .LBB8_918
; %bb.917:
	global_load_sbyte v2, v[0:1], off
	s_waitcnt vmcnt(0)
	v_cvt_f64_i32_e32 v[2:3], v2
	s_branch .LBB8_919
.LBB8_918:
	s_mov_b32 s14, -1
                                        ; implicit-def: $vgpr2_vgpr3
.LBB8_919:
	s_andn2_b32 vcc_lo, exec_lo, s14
	s_cbranch_vccnz .LBB8_921
; %bb.920:
	global_load_ubyte v0, v[0:1], off
	s_waitcnt vmcnt(0)
	v_cvt_f64_u32_e32 v[2:3], v0
.LBB8_921:
	s_or_b32 s0, s0, exec_lo
.LBB8_922:
	s_or_b32 exec_lo, exec_lo, s13
	s_mov_b32 s16, 0
	s_mov_b32 s15, 0
                                        ; implicit-def: $sgpr14
                                        ; implicit-def: $vgpr4_vgpr5
                                        ; implicit-def: $vgpr0_vgpr1
	s_and_saveexec_b32 s13, s0
	s_cbranch_execz .LBB8_934
; %bb.923:
	s_waitcnt vmcnt(0)
	v_cmp_ge_f64_e64 s0, 0x40200000, |v[2:3]|
                                        ; implicit-def: $vgpr0_vgpr1
	s_and_saveexec_b32 s14, s0
	s_xor_b32 s0, exec_lo, s14
	s_cbranch_execz .LBB8_925
; %bb.924:
	v_fma_f64 v[0:1], |v[2:3]|, 0.5, -2.0
	s_mov_b32 s14, 0x977da589
	s_mov_b32 s15, 0x3c833362
	s_mov_b32 s17, 0xbc545cb7
	s_mov_b32 s16, 0x2134d0ef
	v_fma_f64 v[4:5], v[0:1], s[16:17], s[14:15]
	s_mov_b32 s17, 0x3c545cb7
	s_mov_b32 s14, 0x721ebbb4
	;; [unrolled: 1-line block ×3, first 2 shown]
	v_fma_f64 v[6:7], v[0:1], v[4:5], s[16:17]
	s_mov_b32 s16, 0x3b39803f
	s_mov_b32 s17, 0xbc7abc9e
	v_add_f64 v[6:7], v[6:7], s[14:15]
	s_mov_b32 s14, 0x93f65eba
	s_mov_b32 s15, 0x3cdee6d8
	v_fma_f64 v[4:5], v[0:1], v[6:7], -v[4:5]
	v_add_f64 v[4:5], v[4:5], s[14:15]
	s_mov_b32 s14, 0xc297fbeb
	s_mov_b32 s15, 0xbd0a5022
	v_fma_f64 v[6:7], v[0:1], v[4:5], -v[6:7]
	;; [unrolled: 4-line block ×20, first 2 shown]
	v_add_f64 v[6:7], v[6:7], s[14:15]
	s_mov_b32 s14, 0x652b82fe
	s_mov_b32 s15, 0x3ff71547
	v_mul_f64 v[8:9], |v[2:3]|, s[14:15]
	s_mov_b32 s14, 0xf3dde3dd
	s_mov_b32 s15, 0x3f859961
	v_fma_f64 v[4:5], v[0:1], v[6:7], -v[4:5]
	v_rndne_f64_e32 v[8:9], v[8:9]
	v_add_f64 v[4:5], v[4:5], s[14:15]
	s_mov_b32 s14, 0xfefa39ef
	s_mov_b32 s15, 0xbfe62e42
	v_fma_f64 v[2:3], v[8:9], s[14:15], |v[2:3]|
	s_mov_b32 s14, 0xf121b6f0
	s_mov_b32 s15, 0xbf984e9e
	v_fma_f64 v[6:7], v[0:1], v[4:5], -v[6:7]
	v_fma_f64 v[2:3], v[8:9], s[16:17], v[2:3]
	s_mov_b32 s16, 0x6a5dcb37
	s_mov_b32 s17, 0x3e5ade15
	v_add_f64 v[6:7], v[6:7], s[14:15]
	s_mov_b32 s14, 0xfca7ab0c
	s_mov_b32 s15, 0x3e928af3
	v_fma_f64 v[11:12], v[2:3], s[16:17], s[14:15]
	s_mov_b32 s14, 0xcea8a32d
	s_mov_b32 s16, 0x623fde64
	;; [unrolled: 1-line block ×4, first 2 shown]
	v_fma_f64 v[4:5], v[0:1], v[6:7], -v[4:5]
	v_fma_f64 v[11:12], v[2:3], v[11:12], s[16:17]
	s_mov_b32 s16, 0x14761f6e
	s_mov_b32 s17, 0x3f2a01a0
	v_add_f64 v[4:5], v[4:5], s[14:15]
	s_mov_b32 s14, 0x7c89e6b0
	s_mov_b32 s15, 0x3efa0199
	v_fma_f64 v[11:12], v[2:3], v[11:12], s[14:15]
	s_mov_b32 s14, 0x342d06ea
	s_mov_b32 s15, 0xbfb84b70
	v_fma_f64 v[6:7], v[0:1], v[4:5], -v[6:7]
	v_fma_f64 v[11:12], v[2:3], v[11:12], s[16:17]
	s_mov_b32 s16, 0x11122322
	s_mov_b32 s17, 0x3f811111
	v_add_f64 v[6:7], v[6:7], s[14:15]
	s_mov_b32 s14, 0x1852b7b0
	s_mov_b32 s15, 0x3f56c16c
	v_fma_f64 v[11:12], v[2:3], v[11:12], s[14:15]
	s_mov_b32 s14, 0x77ac88c0
	s_mov_b32 s15, 0x3fc5f7ac
	;; [unrolled: 10-line block ×3, first 2 shown]
	v_fma_f64 v[6:7], v[0:1], v[4:5], -v[6:7]
	v_fma_f64 v[11:12], v[2:3], v[11:12], s[16:17]
	v_add_f64 v[6:7], v[6:7], s[14:15]
	s_mov_b32 s14, 11
	s_mov_b32 s15, 0x3fe00000
	v_fma_f64 v[11:12], v[2:3], v[11:12], s[14:15]
	s_mov_b32 s14, 0x9035a22a
	s_mov_b32 s15, 0x3fe5a84e
	v_fma_f64 v[0:1], v[0:1], v[6:7], -v[4:5]
	v_fma_f64 v[6:7], v[2:3], v[11:12], 1.0
	v_add_f64 v[0:1], v[0:1], s[14:15]
	v_fma_f64 v[2:3], v[2:3], v[6:7], 1.0
	v_cvt_i32_f64_e32 v6, v[8:9]
	v_add_f64 v[0:1], v[0:1], -v[4:5]
	v_ldexp_f64 v[2:3], v[2:3], v6
	v_mul_f64 v[0:1], v[0:1], 0.5
	v_mul_f64 v[0:1], v[2:3], v[0:1]
                                        ; implicit-def: $vgpr2_vgpr3
.LBB8_925:
	s_andn2_saveexec_b32 s14, s0
	s_cbranch_execz .LBB8_927
; %bb.926:
	v_and_b32_e32 v1, 0x7fffffff, v3
	v_mov_b32_e32 v0, v2
	s_mov_b32 s16, 0x66119130
	s_mov_b32 s17, 0xbc5646da
	;; [unrolled: 1-line block ×4, first 2 shown]
	v_div_scale_f64 v[4:5], null, v[0:1], v[0:1], 0x40400000
	v_div_scale_f64 v[0:1], vcc_lo, 0x40400000, v[0:1], 0x40400000
	v_cmp_gt_f64_e64 s0, 0x10000000, |v[2:3]|
	v_rcp_f64_e32 v[6:7], v[4:5]
	v_cndmask_b32_e64 v15, 0, 0x100, s0
	v_ldexp_f64 v[15:16], |v[2:3]|, v15
	v_fma_f64 v[8:9], -v[4:5], v[6:7], 1.0
	v_rsq_f64_e32 v[17:18], v[15:16]
	v_fma_f64 v[6:7], v[6:7], v[8:9], v[6:7]
	v_mul_f64 v[19:20], v[15:16], v[17:18]
	v_mul_f64 v[17:18], v[17:18], 0.5
	v_fma_f64 v[8:9], -v[4:5], v[6:7], 1.0
	v_fma_f64 v[21:22], -v[17:18], v[19:20], 0.5
	v_fma_f64 v[6:7], v[6:7], v[8:9], v[6:7]
	v_fma_f64 v[19:20], v[19:20], v[21:22], v[19:20]
	;; [unrolled: 1-line block ×3, first 2 shown]
	v_mul_f64 v[8:9], v[0:1], v[6:7]
	v_fma_f64 v[21:22], -v[19:20], v[19:20], v[15:16]
	v_fma_f64 v[0:1], -v[4:5], v[8:9], v[0:1]
	v_div_fmas_f64 v[0:1], v[0:1], v[6:7], v[8:9]
	v_cmp_nlt_f64_e64 vcc_lo, 0x40900000, |v[2:3]|
	v_div_fixup_f64 v[0:1], v[0:1], |v[2:3]|, 0x40400000
	v_add_f64 v[0:1], v[0:1], -2.0
	v_fma_f64 v[4:5], v[0:1], s[18:19], s[16:17]
	s_mov_b32 s19, 0x3c60adb7
	s_mov_b32 s16, 0x12d98421
	;; [unrolled: 1-line block ×3, first 2 shown]
	v_fma_f64 v[6:7], v[0:1], v[4:5], s[18:19]
	s_mov_b32 s18, 0x6a5dcb37
	s_mov_b32 s19, 0x3e5ade15
	v_add_f64 v[6:7], v[6:7], s[16:17]
	s_mov_b32 s16, 0x76041cd
	s_mov_b32 s17, 0x3c83f3dd
	v_fma_f64 v[4:5], v[0:1], v[6:7], -v[4:5]
	v_add_f64 v[4:5], v[4:5], s[16:17]
	s_mov_b32 s16, 0xabd21fe4
	s_mov_b32 s17, 0xbcb4600b
	v_fma_f64 v[6:7], v[0:1], v[4:5], -v[6:7]
	;; [unrolled: 4-line block ×15, first 2 shown]
	v_add_f64 v[4:5], v[4:5], s[16:17]
	s_mov_b32 s16, 0x652b82fe
	s_mov_b32 s17, 0x3ff71547
	v_mul_f64 v[8:9], |v[2:3]|, s[16:17]
	s_mov_b32 s16, 0xa9225b87
	s_mov_b32 s17, 0x3e2d2c64
	v_fma_f64 v[6:7], v[0:1], v[4:5], -v[6:7]
	v_rndne_f64_e32 v[8:9], v[8:9]
	v_add_f64 v[6:7], v[6:7], s[16:17]
	s_mov_b32 s16, 0xfefa39ef
	s_mov_b32 s17, 0xbfe62e42
	v_fma_f64 v[11:12], v[8:9], s[16:17], |v[2:3]|
	s_mov_b32 s16, 0x3b39803f
	s_mov_b32 s17, 0xbc7abc9e
	v_cndmask_b32_e64 v2, 0, 0xffffff80, s0
	v_cmp_class_f64_e64 s0, v[15:16], 0x260
	v_fma_f64 v[4:5], v[0:1], v[6:7], -v[4:5]
	v_fma_f64 v[11:12], v[8:9], s[16:17], v[11:12]
	s_mov_b32 s16, 0x80d6d56d
	s_mov_b32 s17, 0x3e585692
	v_add_f64 v[4:5], v[4:5], s[16:17]
	s_mov_b32 s16, 0xfca7ab0c
	s_mov_b32 s17, 0x3e928af3
	v_fma_f64 v[13:14], v[11:12], s[18:19], s[16:17]
	s_mov_b32 s16, 0x623fde64
	s_mov_b32 s17, 0x3ec71dee
	v_fma_f64 v[6:7], v[0:1], v[4:5], -v[6:7]
	v_fma_f64 v[13:14], v[11:12], v[13:14], s[16:17]
	s_mov_b32 s16, 0xd9cd616e
	s_mov_b32 s17, 0x3e8b8007
	v_add_f64 v[6:7], v[6:7], s[16:17]
	s_mov_b32 s16, 0x7c89e6b0
	s_mov_b32 s17, 0x3efa0199
	v_fma_f64 v[13:14], v[11:12], v[13:14], s[16:17]
	s_mov_b32 s16, 0x14761f6e
	s_mov_b32 s17, 0x3f2a01a0
	;; [unrolled: 10-line block ×5, first 2 shown]
	v_fma_f64 v[0:1], v[0:1], v[4:5], -v[6:7]
	v_fma_f64 v[4:5], v[21:22], v[17:18], v[19:20]
	v_cvt_i32_f64_e32 v21, v[8:9]
	v_fma_f64 v[13:14], v[11:12], v[13:14], 1.0
	v_add_f64 v[0:1], v[0:1], s[16:17]
	v_fma_f64 v[19:20], -v[4:5], v[4:5], v[15:16]
	v_fma_f64 v[8:9], v[11:12], v[13:14], 1.0
	v_add_f64 v[0:1], v[0:1], -v[6:7]
	v_fma_f64 v[4:5], v[19:20], v[17:18], v[4:5]
	v_ldexp_f64 v[6:7], v[8:9], v21
	v_mul_f64 v[0:1], v[0:1], 0.5
	v_ldexp_f64 v[2:3], v[4:5], v2
	v_cndmask_b32_e32 v5, 0x7ff00000, v7, vcc_lo
	v_cndmask_b32_e32 v4, 0, v6, vcc_lo
	v_mul_f64 v[0:1], v[4:5], v[0:1]
	v_cndmask_b32_e64 v3, v3, v16, s0
	v_cndmask_b32_e64 v2, v2, v15, s0
	v_div_scale_f64 v[4:5], null, v[2:3], v[2:3], v[0:1]
	v_rcp_f64_e32 v[6:7], v[4:5]
	v_fma_f64 v[8:9], -v[4:5], v[6:7], 1.0
	v_fma_f64 v[6:7], v[6:7], v[8:9], v[6:7]
	v_fma_f64 v[8:9], -v[4:5], v[6:7], 1.0
	v_fma_f64 v[6:7], v[6:7], v[8:9], v[6:7]
	v_div_scale_f64 v[8:9], vcc_lo, v[0:1], v[2:3], v[0:1]
	v_mul_f64 v[11:12], v[8:9], v[6:7]
	v_fma_f64 v[4:5], -v[4:5], v[11:12], v[8:9]
	v_div_fmas_f64 v[4:5], v[4:5], v[6:7], v[11:12]
	v_div_fixup_f64 v[0:1], v[4:5], v[2:3], v[0:1]
.LBB8_927:
	s_or_b32 exec_lo, exec_lo, s14
	v_mul_lo_u32 v2, v10, s2
	s_and_b32 s14, s1, 0xff
	s_cmp_lt_i32 s14, 11
	v_ashrrev_i32_e32 v3, 31, v2
	v_add_co_u32 v4, vcc_lo, s8, v2
	v_add_co_ci_u32_e64 v5, null, s9, v3, vcc_lo
	s_cbranch_scc1 .LBB8_937
; %bb.928:
	s_and_b32 s15, 0xffff, s14
	s_mov_b32 s16, -1
	s_cmp_gt_i32 s15, 25
	s_mov_b32 s0, s7
	s_cbranch_scc0 .LBB8_965
; %bb.929:
	s_cmp_gt_i32 s15, 28
	s_mov_b32 s0, s7
	s_cbranch_scc0 .LBB8_949
; %bb.930:
	;; [unrolled: 4-line block ×4, first 2 shown]
	s_cmp_eq_u32 s15, 46
	s_mov_b32 s0, -1
	s_cbranch_scc0 .LBB8_938
; %bb.933:
	v_cvt_f32_f64_e32 v2, v[0:1]
	s_mov_b32 s0, 0
	s_mov_b32 s16, 0
	v_bfe_u32 v3, v2, 16, 1
	v_cmp_o_f32_e32 vcc_lo, v2, v2
	v_add3_u32 v2, v2, v3, 0x7fff
	v_mov_b32_e32 v3, 0x7fc0
	v_cndmask_b32_sdwa v2, v3, v2, vcc_lo dst_sel:DWORD dst_unused:UNUSED_PAD src0_sel:DWORD src1_sel:WORD_1
	global_store_dword v[4:5], v2, off
	s_branch .LBB8_939
.LBB8_934:
	s_or_b32 exec_lo, exec_lo, s13
	s_and_saveexec_b32 s0, s7
	s_cbranch_execnz .LBB8_1007
.LBB8_935:
	s_or_b32 exec_lo, exec_lo, s0
	s_and_saveexec_b32 s0, s16
	s_xor_b32 s0, exec_lo, s0
	s_cbranch_execz .LBB8_1008
.LBB8_936:
	v_cmp_neq_f64_e32 vcc_lo, 0, v[0:1]
	s_waitcnt vmcnt(0)
	v_cndmask_b32_e64 v2, 0, 1, vcc_lo
	global_store_byte v[4:5], v2, off
	s_or_b32 exec_lo, exec_lo, s0
	s_and_saveexec_b32 s0, s15
	s_xor_b32 s0, exec_lo, s0
	s_cbranch_execz .LBB8_1046
	s_branch .LBB8_1009
.LBB8_937:
	s_mov_b32 s17, 0
	s_mov_b32 s16, -1
	s_mov_b32 s0, s7
	s_branch .LBB8_1006
.LBB8_938:
	s_mov_b32 s16, 0
.LBB8_939:
	s_and_b32 vcc_lo, exec_lo, s16
	s_cbranch_vccz .LBB8_944
; %bb.940:
	s_cmp_eq_u32 s15, 44
	s_mov_b32 s0, -1
	s_cbranch_scc0 .LBB8_944
; %bb.941:
	v_cvt_f32_f64_e32 v2, v[0:1]
	v_mov_b32_e32 v3, 0xff
	s_mov_b32 s16, exec_lo
	v_bfe_u32 v6, v2, 23, 8
	v_cmpx_ne_u32_e32 0xff, v6
	s_cbranch_execz .LBB8_943
; %bb.942:
	v_and_b32_e32 v3, 0x400000, v2
	v_and_or_b32 v6, 0x3fffff, v2, v6
	v_lshrrev_b32_e32 v2, 23, v2
	v_cmp_ne_u32_e32 vcc_lo, 0, v3
	v_cmp_ne_u32_e64 s0, 0, v6
	s_and_b32 s0, vcc_lo, s0
	v_cndmask_b32_e64 v3, 0, 1, s0
	v_add_nc_u32_e32 v3, v2, v3
.LBB8_943:
	s_or_b32 exec_lo, exec_lo, s16
	s_mov_b32 s0, 0
	global_store_byte v[4:5], v3, off
.LBB8_944:
	s_mov_b32 s16, 0
.LBB8_945:
	s_and_b32 vcc_lo, exec_lo, s16
	s_cbranch_vccz .LBB8_948
; %bb.946:
	s_cmp_eq_u32 s15, 29
	s_mov_b32 s0, -1
	s_cbranch_scc0 .LBB8_948
; %bb.947:
	v_trunc_f64_e32 v[2:3], v[0:1]
	s_mov_b32 s0, 0
	s_mov_b32 s16, 0
	v_ldexp_f64 v[6:7], v[2:3], 0xffffffe0
	v_floor_f64_e32 v[6:7], v[6:7]
	v_fma_f64 v[2:3], 0xc1f00000, v[6:7], v[2:3]
	v_cvt_u32_f64_e32 v7, v[6:7]
	v_cvt_u32_f64_e32 v6, v[2:3]
	global_store_dwordx2 v[4:5], v[6:7], off
	s_branch .LBB8_949
.LBB8_948:
	s_mov_b32 s16, 0
.LBB8_949:
	s_and_b32 vcc_lo, exec_lo, s16
	s_cbranch_vccz .LBB8_964
; %bb.950:
	s_cmp_lt_i32 s15, 27
	s_mov_b32 s16, -1
	s_cbranch_scc1 .LBB8_956
; %bb.951:
	v_cvt_u32_f64_e32 v2, v[0:1]
	s_cmp_gt_i32 s15, 27
	s_cbranch_scc0 .LBB8_953
; %bb.952:
	s_mov_b32 s16, 0
	global_store_dword v[4:5], v2, off
.LBB8_953:
	s_andn2_b32 vcc_lo, exec_lo, s16
	s_cbranch_vccnz .LBB8_955
; %bb.954:
	global_store_short v[4:5], v2, off
.LBB8_955:
	s_mov_b32 s16, 0
.LBB8_956:
	s_andn2_b32 vcc_lo, exec_lo, s16
	s_cbranch_vccnz .LBB8_964
; %bb.957:
	v_cvt_f32_f64_e32 v2, v[0:1]
	v_mov_b32_e32 v6, 0x80
	s_mov_b32 s16, exec_lo
	v_and_b32_e32 v3, 0x7fffffff, v2
	v_cmpx_gt_u32_e32 0x43800000, v3
	s_cbranch_execz .LBB8_963
; %bb.958:
	v_cmp_lt_u32_e32 vcc_lo, 0x3bffffff, v3
	s_mov_b32 s17, 0
                                        ; implicit-def: $vgpr3
	s_and_saveexec_b32 s18, vcc_lo
	s_xor_b32 s18, exec_lo, s18
	s_cbranch_execz .LBB8_1061
; %bb.959:
	v_bfe_u32 v3, v2, 20, 1
	s_mov_b32 s17, exec_lo
	v_add3_u32 v3, v2, v3, 0x487ffff
	v_lshrrev_b32_e32 v3, 20, v3
	s_andn2_saveexec_b32 s18, s18
	s_cbranch_execnz .LBB8_1062
.LBB8_960:
	s_or_b32 exec_lo, exec_lo, s18
	v_mov_b32_e32 v6, 0
	s_and_saveexec_b32 s18, s17
.LBB8_961:
	v_lshrrev_b32_e32 v2, 24, v2
	v_and_or_b32 v6, 0x80, v2, v3
.LBB8_962:
	s_or_b32 exec_lo, exec_lo, s18
.LBB8_963:
	s_or_b32 exec_lo, exec_lo, s16
	global_store_byte v[4:5], v6, off
.LBB8_964:
	s_mov_b32 s16, 0
.LBB8_965:
	s_and_b32 vcc_lo, exec_lo, s16
	s_mov_b32 s16, 0
	s_cbranch_vccz .LBB8_1005
; %bb.966:
	s_cmp_gt_i32 s15, 22
	s_mov_b32 s17, -1
	s_cbranch_scc0 .LBB8_998
; %bb.967:
	s_cmp_lt_i32 s15, 24
	s_cbranch_scc1 .LBB8_987
; %bb.968:
	s_cmp_gt_i32 s15, 24
	s_cbranch_scc0 .LBB8_976
; %bb.969:
	v_cvt_f32_f64_e32 v2, v[0:1]
	v_mov_b32_e32 v6, 0x80
	s_mov_b32 s17, exec_lo
	v_and_b32_e32 v3, 0x7fffffff, v2
	v_cmpx_gt_u32_e32 0x47800000, v3
	s_cbranch_execz .LBB8_975
; %bb.970:
	v_cmp_lt_u32_e32 vcc_lo, 0x37ffffff, v3
	s_mov_b32 s18, 0
                                        ; implicit-def: $vgpr3
	s_and_saveexec_b32 s19, vcc_lo
	s_xor_b32 s19, exec_lo, s19
	s_cbranch_execz .LBB8_1191
; %bb.971:
	v_bfe_u32 v3, v2, 21, 1
	s_mov_b32 s18, exec_lo
	v_add3_u32 v3, v2, v3, 0x88fffff
	v_lshrrev_b32_e32 v3, 21, v3
	s_andn2_saveexec_b32 s19, s19
	s_cbranch_execnz .LBB8_1192
.LBB8_972:
	s_or_b32 exec_lo, exec_lo, s19
	v_mov_b32_e32 v6, 0
	s_and_saveexec_b32 s19, s18
.LBB8_973:
	v_lshrrev_b32_e32 v2, 24, v2
	v_and_or_b32 v6, 0x80, v2, v3
.LBB8_974:
	s_or_b32 exec_lo, exec_lo, s19
.LBB8_975:
	s_or_b32 exec_lo, exec_lo, s17
	s_mov_b32 s17, 0
	global_store_byte v[4:5], v6, off
.LBB8_976:
	s_and_b32 vcc_lo, exec_lo, s17
	s_cbranch_vccz .LBB8_986
; %bb.977:
	v_cvt_f32_f64_e32 v2, v[0:1]
	s_mov_b32 s17, exec_lo
                                        ; implicit-def: $vgpr3
	v_and_b32_e32 v6, 0x7fffffff, v2
	v_cmpx_gt_u32_e32 0x43f00000, v6
	s_xor_b32 s17, exec_lo, s17
	s_cbranch_execz .LBB8_983
; %bb.978:
	s_mov_b32 s18, exec_lo
                                        ; implicit-def: $vgpr3
	v_cmpx_lt_u32_e32 0x3c7fffff, v6
	s_xor_b32 s18, exec_lo, s18
; %bb.979:
	v_bfe_u32 v3, v2, 20, 1
	v_add3_u32 v3, v2, v3, 0x407ffff
	v_and_b32_e32 v6, 0xff00000, v3
	v_lshrrev_b32_e32 v3, 20, v3
	v_cmp_ne_u32_e32 vcc_lo, 0x7f00000, v6
	v_cndmask_b32_e32 v3, 0x7e, v3, vcc_lo
; %bb.980:
	s_andn2_saveexec_b32 s18, s18
; %bb.981:
	v_add_f32_e64 v3, 0x46800000, |v2|
; %bb.982:
	s_or_b32 exec_lo, exec_lo, s18
                                        ; implicit-def: $vgpr6
.LBB8_983:
	s_andn2_saveexec_b32 s17, s17
; %bb.984:
	v_mov_b32_e32 v3, 0x7f
	v_cmp_lt_u32_e32 vcc_lo, 0x7f800000, v6
	v_cndmask_b32_e32 v3, 0x7e, v3, vcc_lo
; %bb.985:
	s_or_b32 exec_lo, exec_lo, s17
	v_lshrrev_b32_e32 v2, 24, v2
	v_and_or_b32 v2, 0x80, v2, v3
	global_store_byte v[4:5], v2, off
.LBB8_986:
	s_mov_b32 s17, 0
.LBB8_987:
	s_andn2_b32 vcc_lo, exec_lo, s17
	s_cbranch_vccnz .LBB8_997
; %bb.988:
	v_cvt_f32_f64_e32 v2, v[0:1]
	s_mov_b32 s17, exec_lo
                                        ; implicit-def: $vgpr3
	v_and_b32_e32 v6, 0x7fffffff, v2
	v_cmpx_gt_u32_e32 0x47800000, v6
	s_xor_b32 s17, exec_lo, s17
	s_cbranch_execz .LBB8_994
; %bb.989:
	s_mov_b32 s18, exec_lo
                                        ; implicit-def: $vgpr3
	v_cmpx_lt_u32_e32 0x387fffff, v6
	s_xor_b32 s18, exec_lo, s18
; %bb.990:
	v_bfe_u32 v3, v2, 21, 1
	v_add3_u32 v3, v2, v3, 0x80fffff
	v_lshrrev_b32_e32 v3, 21, v3
; %bb.991:
	s_andn2_saveexec_b32 s18, s18
; %bb.992:
	v_add_f32_e64 v3, 0x43000000, |v2|
; %bb.993:
	s_or_b32 exec_lo, exec_lo, s18
                                        ; implicit-def: $vgpr6
.LBB8_994:
	s_andn2_saveexec_b32 s17, s17
; %bb.995:
	v_mov_b32_e32 v3, 0x7f
	v_cmp_lt_u32_e32 vcc_lo, 0x7f800000, v6
	v_cndmask_b32_e32 v3, 0x7c, v3, vcc_lo
; %bb.996:
	s_or_b32 exec_lo, exec_lo, s17
	v_lshrrev_b32_e32 v2, 24, v2
	v_and_or_b32 v2, 0x80, v2, v3
	global_store_byte v[4:5], v2, off
.LBB8_997:
	s_mov_b32 s17, 0
.LBB8_998:
	s_andn2_b32 vcc_lo, exec_lo, s17
	s_mov_b32 s17, 0
	s_cbranch_vccnz .LBB8_1006
; %bb.999:
	s_cmp_gt_i32 s15, 14
	s_mov_b32 s17, -1
	s_cbranch_scc0 .LBB8_1003
; %bb.1000:
	s_cmp_eq_u32 s15, 15
	s_mov_b32 s0, -1
	s_cbranch_scc0 .LBB8_1002
; %bb.1001:
	v_cvt_f32_f64_e32 v2, v[0:1]
	s_mov_b32 s0, 0
	v_bfe_u32 v3, v2, 16, 1
	v_cmp_o_f32_e32 vcc_lo, v2, v2
	v_add3_u32 v2, v2, v3, 0x7fff
	v_mov_b32_e32 v3, 0x7fc0
	v_cndmask_b32_sdwa v2, v3, v2, vcc_lo dst_sel:DWORD dst_unused:UNUSED_PAD src0_sel:DWORD src1_sel:WORD_1
	global_store_short v[4:5], v2, off
.LBB8_1002:
	s_mov_b32 s17, 0
.LBB8_1003:
	s_and_b32 vcc_lo, exec_lo, s17
	s_mov_b32 s17, 0
	s_cbranch_vccz .LBB8_1006
; %bb.1004:
	s_cmp_lg_u32 s15, 11
	s_mov_b32 s17, -1
	s_cselect_b32 s15, -1, 0
	s_andn2_b32 s0, s0, exec_lo
	s_and_b32 s15, s15, exec_lo
	s_or_b32 s0, s0, s15
	s_branch .LBB8_1006
.LBB8_1005:
	s_mov_b32 s17, 0
.LBB8_1006:
	s_andn2_b32 s7, s7, exec_lo
	s_and_b32 s0, s0, exec_lo
	s_and_b32 s15, s16, exec_lo
	;; [unrolled: 1-line block ×3, first 2 shown]
	s_or_b32 s7, s7, s0
	s_or_b32 exec_lo, exec_lo, s13
	s_and_saveexec_b32 s0, s7
	s_cbranch_execz .LBB8_935
.LBB8_1007:
	s_or_b32 s12, s12, exec_lo
	s_andn2_b32 s16, s16, exec_lo
	s_trap 2
	s_or_b32 exec_lo, exec_lo, s0
	s_and_saveexec_b32 s0, s16
	s_xor_b32 s0, exec_lo, s0
	s_cbranch_execnz .LBB8_936
.LBB8_1008:
	s_or_b32 exec_lo, exec_lo, s0
	s_and_saveexec_b32 s0, s15
	s_xor_b32 s0, exec_lo, s0
	s_cbranch_execz .LBB8_1046
.LBB8_1009:
	s_sext_i32_i16 s13, s14
	s_mov_b32 s7, -1
	s_cmp_lt_i32 s13, 5
	s_cbranch_scc1 .LBB8_1030
; %bb.1010:
	s_cmp_lt_i32 s13, 8
	s_cbranch_scc1 .LBB8_1020
; %bb.1011:
	s_cmp_lt_i32 s13, 9
	s_cbranch_scc1 .LBB8_1017
; %bb.1012:
	s_cmp_gt_i32 s13, 9
	s_cbranch_scc0 .LBB8_1014
; %bb.1013:
	s_waitcnt vmcnt(0)
	v_mov_b32_e32 v2, 0
	s_mov_b32 s7, 0
	v_mov_b32_e32 v3, v2
	global_store_dwordx4 v[4:5], v[0:3], off
.LBB8_1014:
	s_andn2_b32 vcc_lo, exec_lo, s7
	s_cbranch_vccnz .LBB8_1016
; %bb.1015:
	s_waitcnt vmcnt(0)
	v_cvt_f32_f64_e32 v2, v[0:1]
	v_mov_b32_e32 v3, 0
	global_store_dwordx2 v[4:5], v[2:3], off
.LBB8_1016:
	s_mov_b32 s7, 0
.LBB8_1017:
	s_andn2_b32 vcc_lo, exec_lo, s7
	s_cbranch_vccnz .LBB8_1019
; %bb.1018:
	s_waitcnt vmcnt(0)
	v_and_or_b32 v2, 0x1ff, v1, v0
	v_lshrrev_b32_e32 v3, 8, v1
	v_bfe_u32 v6, v1, 20, 11
	v_cmp_ne_u32_e32 vcc_lo, 0, v2
	v_sub_nc_u32_e32 v7, 0x3f1, v6
	v_add_nc_u32_e32 v6, 0xfffffc10, v6
	v_cndmask_b32_e64 v2, 0, 1, vcc_lo
	v_and_or_b32 v2, 0xffe, v3, v2
	v_med3_i32 v3, v7, 0, 13
	v_or_b32_e32 v7, 0x1000, v2
	v_lshrrev_b32_e32 v8, v3, v7
	v_lshlrev_b32_e32 v3, v3, v8
	v_cmp_ne_u32_e32 vcc_lo, v3, v7
	v_lshl_or_b32 v7, v6, 12, v2
	v_cndmask_b32_e64 v3, 0, 1, vcc_lo
	v_cmp_gt_i32_e32 vcc_lo, 1, v6
	v_or_b32_e32 v3, v8, v3
	v_cndmask_b32_e32 v3, v7, v3, vcc_lo
	v_and_b32_e32 v7, 7, v3
	v_lshrrev_b32_e32 v3, 2, v3
	v_cmp_lt_i32_e32 vcc_lo, 5, v7
	v_cndmask_b32_e64 v8, 0, 1, vcc_lo
	v_cmp_eq_u32_e32 vcc_lo, 3, v7
	v_cndmask_b32_e64 v7, 0, 1, vcc_lo
	v_cmp_ne_u32_e32 vcc_lo, 0, v2
	v_or_b32_e32 v7, v7, v8
	v_mov_b32_e32 v8, 0x7e00
	v_add_nc_u32_e32 v3, v3, v7
	v_cndmask_b32_e32 v2, 0x7c00, v8, vcc_lo
	v_cmp_gt_i32_e32 vcc_lo, 31, v6
	v_cndmask_b32_e32 v3, 0x7c00, v3, vcc_lo
	v_cmp_eq_u32_e32 vcc_lo, 0x40f, v6
	v_cndmask_b32_e32 v2, v3, v2, vcc_lo
	v_lshrrev_b32_e32 v3, 16, v1
	v_and_or_b32 v2, 0x8000, v3, v2
	v_and_b32_e32 v2, 0xffff, v2
	global_store_dword v[4:5], v2, off
.LBB8_1019:
	s_mov_b32 s7, 0
.LBB8_1020:
	s_andn2_b32 vcc_lo, exec_lo, s7
	s_cbranch_vccnz .LBB8_1029
; %bb.1021:
	s_sext_i32_i16 s13, s14
	s_mov_b32 s7, -1
	s_cmp_lt_i32 s13, 6
	s_cbranch_scc1 .LBB8_1027
; %bb.1022:
	s_cmp_gt_i32 s13, 6
	s_cbranch_scc0 .LBB8_1024
; %bb.1023:
	s_mov_b32 s7, 0
	global_store_dwordx2 v[4:5], v[0:1], off
.LBB8_1024:
	s_andn2_b32 vcc_lo, exec_lo, s7
	s_cbranch_vccnz .LBB8_1026
; %bb.1025:
	s_waitcnt vmcnt(0)
	v_cvt_f32_f64_e32 v2, v[0:1]
	global_store_dword v[4:5], v2, off
.LBB8_1026:
	s_mov_b32 s7, 0
.LBB8_1027:
	s_andn2_b32 vcc_lo, exec_lo, s7
	s_cbranch_vccnz .LBB8_1029
; %bb.1028:
	s_waitcnt vmcnt(0)
	v_and_or_b32 v2, 0x1ff, v1, v0
	v_lshrrev_b32_e32 v3, 8, v1
	v_bfe_u32 v6, v1, 20, 11
	v_cmp_ne_u32_e32 vcc_lo, 0, v2
	v_sub_nc_u32_e32 v7, 0x3f1, v6
	v_add_nc_u32_e32 v6, 0xfffffc10, v6
	v_cndmask_b32_e64 v2, 0, 1, vcc_lo
	v_and_or_b32 v2, 0xffe, v3, v2
	v_med3_i32 v3, v7, 0, 13
	v_or_b32_e32 v7, 0x1000, v2
	v_lshrrev_b32_e32 v8, v3, v7
	v_lshlrev_b32_e32 v3, v3, v8
	v_cmp_ne_u32_e32 vcc_lo, v3, v7
	v_lshl_or_b32 v7, v6, 12, v2
	v_cndmask_b32_e64 v3, 0, 1, vcc_lo
	v_cmp_gt_i32_e32 vcc_lo, 1, v6
	v_or_b32_e32 v3, v8, v3
	v_cndmask_b32_e32 v3, v7, v3, vcc_lo
	v_and_b32_e32 v7, 7, v3
	v_lshrrev_b32_e32 v3, 2, v3
	v_cmp_lt_i32_e32 vcc_lo, 5, v7
	v_cndmask_b32_e64 v8, 0, 1, vcc_lo
	v_cmp_eq_u32_e32 vcc_lo, 3, v7
	v_cndmask_b32_e64 v7, 0, 1, vcc_lo
	v_cmp_ne_u32_e32 vcc_lo, 0, v2
	v_or_b32_e32 v7, v7, v8
	v_mov_b32_e32 v8, 0x7e00
	v_add_nc_u32_e32 v3, v3, v7
	v_cndmask_b32_e32 v2, 0x7c00, v8, vcc_lo
	v_cmp_gt_i32_e32 vcc_lo, 31, v6
	v_cndmask_b32_e32 v3, 0x7c00, v3, vcc_lo
	v_cmp_eq_u32_e32 vcc_lo, 0x40f, v6
	v_cndmask_b32_e32 v2, v3, v2, vcc_lo
	v_lshrrev_b32_e32 v3, 16, v1
	v_and_or_b32 v2, 0x8000, v3, v2
	global_store_short v[4:5], v2, off
.LBB8_1029:
	s_mov_b32 s7, 0
.LBB8_1030:
	s_andn2_b32 vcc_lo, exec_lo, s7
	s_cbranch_vccnz .LBB8_1046
; %bb.1031:
	s_sext_i32_i16 s13, s14
	s_mov_b32 s7, -1
	s_cmp_lt_i32 s13, 2
	s_cbranch_scc1 .LBB8_1041
; %bb.1032:
	s_cmp_lt_i32 s13, 3
	s_cbranch_scc1 .LBB8_1038
; %bb.1033:
	s_cmp_gt_i32 s13, 3
	s_cbranch_scc0 .LBB8_1035
; %bb.1034:
	s_waitcnt vmcnt(0)
	v_trunc_f64_e32 v[2:3], v[0:1]
	s_mov_b32 s7, 0
	v_ldexp_f64 v[6:7], v[2:3], 0xffffffe0
	v_floor_f64_e32 v[6:7], v[6:7]
	v_fma_f64 v[2:3], 0xc1f00000, v[6:7], v[2:3]
	v_cvt_i32_f64_e32 v7, v[6:7]
	v_cvt_u32_f64_e32 v6, v[2:3]
	global_store_dwordx2 v[4:5], v[6:7], off
.LBB8_1035:
	s_andn2_b32 vcc_lo, exec_lo, s7
	s_cbranch_vccnz .LBB8_1037
; %bb.1036:
	s_waitcnt vmcnt(0)
	v_cvt_i32_f64_e32 v2, v[0:1]
	global_store_dword v[4:5], v2, off
.LBB8_1037:
	s_mov_b32 s7, 0
.LBB8_1038:
	s_andn2_b32 vcc_lo, exec_lo, s7
	s_cbranch_vccnz .LBB8_1040
; %bb.1039:
	s_waitcnt vmcnt(0)
	v_cvt_i32_f64_e32 v2, v[0:1]
	global_store_short v[4:5], v2, off
.LBB8_1040:
	s_mov_b32 s7, 0
.LBB8_1041:
	s_andn2_b32 vcc_lo, exec_lo, s7
	s_cbranch_vccnz .LBB8_1046
; %bb.1042:
	s_sext_i32_i16 s7, s14
	s_cmp_gt_i32 s7, 0
	s_mov_b32 s7, -1
	s_cbranch_scc0 .LBB8_1044
; %bb.1043:
	s_waitcnt vmcnt(0)
	v_cvt_i32_f64_e32 v2, v[0:1]
	s_mov_b32 s7, 0
	global_store_byte v[4:5], v2, off
.LBB8_1044:
	s_andn2_b32 vcc_lo, exec_lo, s7
	s_cbranch_vccnz .LBB8_1046
; %bb.1045:
	v_trunc_f64_e32 v[0:1], v[0:1]
	s_waitcnt vmcnt(0)
	v_ldexp_f64 v[2:3], v[0:1], 0xffffffe0
	v_floor_f64_e32 v[2:3], v[2:3]
	v_fma_f64 v[0:1], 0xc1f00000, v[2:3], v[0:1]
	v_cvt_u32_f64_e32 v0, v[0:1]
	global_store_byte v[4:5], v0, off
.LBB8_1046:
	s_or_b32 exec_lo, exec_lo, s0
	s_and_b32 s7, s12, exec_lo
                                        ; implicit-def: $vgpr10
.LBB8_1047:
	s_or_saveexec_b32 s6, s6
	s_mov_b32 s0, 0
                                        ; implicit-def: $sgpr12
                                        ; implicit-def: $vgpr0_vgpr1
                                        ; implicit-def: $vgpr12_vgpr13
	s_xor_b32 exec_lo, exec_lo, s6
	s_cbranch_execz .LBB8_1660
; %bb.1048:
	v_mul_lo_u32 v4, s3, v10
	s_and_b32 s5, 0xffff, s5
	s_cmp_lt_i32 s5, 11
	v_ashrrev_i32_e32 v1, 31, v4
	v_add_co_u32 v0, vcc_lo, s10, v4
	v_add_co_ci_u32_e64 v1, null, s11, v1, vcc_lo
	s_cbranch_scc1 .LBB8_1055
; %bb.1049:
	s_cmp_gt_i32 s5, 25
	s_mov_b32 s12, 0
	s_cbranch_scc0 .LBB8_1057
; %bb.1050:
	s_cmp_gt_i32 s5, 28
	s_cbranch_scc0 .LBB8_1058
; %bb.1051:
	s_cmp_gt_i32 s5, 43
	s_cbranch_scc0 .LBB8_1059
; %bb.1052:
	s_cmp_gt_i32 s5, 45
	s_cbranch_scc0 .LBB8_1060
; %bb.1053:
	s_cmp_eq_u32 s5, 46
	s_cbranch_scc0 .LBB8_1063
; %bb.1054:
	global_load_dword v2, v[0:1], off
	s_mov_b32 s13, -1
	s_waitcnt vmcnt(0)
	v_lshlrev_b32_e32 v2, 16, v2
	v_cvt_f64_f32_e32 v[2:3], v2
	s_branch .LBB8_1065
.LBB8_1055:
	s_mov_b32 s13, 0
	s_mov_b32 s4, s7
                                        ; implicit-def: $vgpr2_vgpr3
	s_cbranch_execnz .LBB8_1128
.LBB8_1056:
	s_andn2_b32 vcc_lo, exec_lo, s13
                                        ; implicit-def: $vgpr14_vgpr15
	s_cbranch_vccz .LBB8_1173
	s_branch .LBB8_1658
.LBB8_1057:
	s_mov_b32 s13, 0
                                        ; implicit-def: $vgpr2_vgpr3
	s_cbranch_execnz .LBB8_1095
	s_branch .LBB8_1124
.LBB8_1058:
	s_mov_b32 s4, -1
	s_mov_b32 s13, 0
                                        ; implicit-def: $vgpr2_vgpr3
	s_branch .LBB8_1074
.LBB8_1059:
	s_mov_b32 s13, 0
                                        ; implicit-def: $vgpr2_vgpr3
	s_cbranch_execnz .LBB8_1070
	s_branch .LBB8_1073
.LBB8_1060:
	s_mov_b32 s4, -1
	s_branch .LBB8_1064
.LBB8_1061:
	s_andn2_saveexec_b32 s18, s18
	s_cbranch_execz .LBB8_960
.LBB8_1062:
	v_add_f32_e64 v3, 0x46000000, |v2|
	s_andn2_b32 s17, s17, exec_lo
	v_and_b32_e32 v3, 0xff, v3
	v_cmp_ne_u32_e32 vcc_lo, 0, v3
	s_and_b32 s19, vcc_lo, exec_lo
	s_or_b32 s17, s17, s19
	s_or_b32 exec_lo, exec_lo, s18
	v_mov_b32_e32 v6, 0
	s_and_saveexec_b32 s18, s17
	s_cbranch_execnz .LBB8_961
	s_branch .LBB8_962
.LBB8_1063:
	s_mov_b32 s0, -1
.LBB8_1064:
	s_mov_b32 s13, 0
                                        ; implicit-def: $vgpr2_vgpr3
.LBB8_1065:
	s_and_b32 vcc_lo, exec_lo, s4
	s_cbranch_vccz .LBB8_1068
; %bb.1066:
	s_cmp_eq_u32 s5, 44
	s_cbranch_scc0 .LBB8_1069
; %bb.1067:
	global_load_ubyte v5, v[0:1], off
	s_mov_b32 s0, 0
	s_mov_b32 s13, -1
	s_waitcnt vmcnt(0)
	v_lshlrev_b32_e32 v2, 23, v5
	v_cmp_ne_u32_e32 vcc_lo, 0xff, v5
	v_cvt_f64_f32_e32 v[2:3], v2
	v_cndmask_b32_e32 v2, 0x20000000, v2, vcc_lo
	v_cndmask_b32_e32 v3, 0x7ff80000, v3, vcc_lo
	v_cmp_ne_u32_e32 vcc_lo, 0, v5
	v_cndmask_b32_e32 v3, 0x38000000, v3, vcc_lo
	v_cndmask_b32_e32 v2, 0, v2, vcc_lo
.LBB8_1068:
	s_branch .LBB8_1073
.LBB8_1069:
	s_mov_b32 s0, -1
                                        ; implicit-def: $vgpr2_vgpr3
	s_branch .LBB8_1073
.LBB8_1070:
	s_cmp_eq_u32 s5, 29
	s_cbranch_scc0 .LBB8_1072
; %bb.1071:
	global_load_dwordx2 v[2:3], v[0:1], off
	s_mov_b32 s0, 0
	s_mov_b32 s13, -1
	s_mov_b32 s4, 0
	s_waitcnt vmcnt(0)
	v_cvt_f64_u32_e32 v[5:6], v3
	v_cvt_f64_u32_e32 v[2:3], v2
	v_ldexp_f64 v[5:6], v[5:6], 32
	v_add_f64 v[2:3], v[5:6], v[2:3]
	s_branch .LBB8_1074
.LBB8_1072:
	s_mov_b32 s0, -1
                                        ; implicit-def: $vgpr2_vgpr3
.LBB8_1073:
	s_mov_b32 s4, 0
.LBB8_1074:
	s_and_b32 vcc_lo, exec_lo, s4
	s_cbranch_vccz .LBB8_1094
; %bb.1075:
	s_cmp_lt_i32 s5, 27
	s_cbranch_scc1 .LBB8_1078
; %bb.1076:
	s_cmp_gt_i32 s5, 27
	s_cbranch_scc0 .LBB8_1079
; %bb.1077:
	global_load_dword v2, v[0:1], off
	s_mov_b32 s4, 0
	s_waitcnt vmcnt(0)
	v_cvt_f64_u32_e32 v[2:3], v2
	s_branch .LBB8_1080
.LBB8_1078:
	s_mov_b32 s4, -1
                                        ; implicit-def: $vgpr2_vgpr3
	s_branch .LBB8_1083
.LBB8_1079:
	s_mov_b32 s4, -1
                                        ; implicit-def: $vgpr2_vgpr3
.LBB8_1080:
	s_andn2_b32 vcc_lo, exec_lo, s4
	s_cbranch_vccnz .LBB8_1082
; %bb.1081:
	global_load_ushort v2, v[0:1], off
	s_waitcnt vmcnt(0)
	v_cvt_f64_u32_e32 v[2:3], v2
.LBB8_1082:
	s_mov_b32 s4, 0
.LBB8_1083:
	s_andn2_b32 vcc_lo, exec_lo, s4
	s_cbranch_vccnz .LBB8_1093
; %bb.1084:
	global_load_ubyte v5, v[0:1], off
	s_mov_b32 s4, 0
	s_mov_b32 s13, exec_lo
	s_waitcnt vmcnt(0)
	v_cmpx_lt_i16_e32 0x7f, v5
	s_xor_b32 s13, exec_lo, s13
	s_cbranch_execz .LBB8_1088
; %bb.1085:
	s_mov_b32 s4, -1
	s_mov_b32 s14, exec_lo
	v_cmpx_eq_u16_e32 0x80, v5
; %bb.1086:
	s_xor_b32 s4, exec_lo, -1
; %bb.1087:
	s_or_b32 exec_lo, exec_lo, s14
	s_and_b32 s4, s4, exec_lo
.LBB8_1088:
	s_or_saveexec_b32 s13, s13
	v_bfrev_b32_e32 v2, 4
	v_mov_b32_e32 v3, 0x7ff80000
	s_xor_b32 exec_lo, exec_lo, s13
; %bb.1089:
	v_cmp_ne_u16_e32 vcc_lo, 0, v5
	v_mov_b32_e32 v2, 0
	v_mov_b32_e32 v3, 0
	s_andn2_b32 s4, s4, exec_lo
	s_and_b32 s14, vcc_lo, exec_lo
	s_or_b32 s4, s4, s14
; %bb.1090:
	s_or_b32 exec_lo, exec_lo, s13
	s_and_saveexec_b32 s13, s4
	s_cbranch_execz .LBB8_1092
; %bb.1091:
	v_and_b32_e32 v2, 0xffff, v5
	v_lshlrev_b32_e32 v5, 24, v5
	v_and_b32_e32 v3, 7, v2
	v_bfe_u32 v8, v2, 3, 4
	v_ffbh_u32_e32 v6, v3
	v_cmp_eq_u32_e32 vcc_lo, 0, v8
	v_min_u32_e32 v6, 32, v6
	v_subrev_nc_u32_e32 v7, 28, v6
	v_sub_nc_u32_e32 v6, 29, v6
	v_lshlrev_b32_e32 v2, v7, v2
	v_cndmask_b32_e32 v6, v8, v6, vcc_lo
	v_and_b32_e32 v2, 7, v2
	v_cndmask_b32_e32 v2, v3, v2, vcc_lo
	v_and_b32_e32 v3, 0x80000000, v5
	v_lshl_add_u32 v5, v6, 23, 0x3b800000
	v_lshlrev_b32_e32 v2, 20, v2
	v_or3_b32 v2, v3, v5, v2
	v_cvt_f64_f32_e32 v[2:3], v2
.LBB8_1092:
	s_or_b32 exec_lo, exec_lo, s13
.LBB8_1093:
	s_mov_b32 s13, -1
.LBB8_1094:
	s_branch .LBB8_1124
.LBB8_1095:
	s_cmp_gt_i32 s5, 22
	s_cbranch_scc0 .LBB8_1107
; %bb.1096:
	s_cmp_lt_i32 s5, 24
	s_cbranch_scc1 .LBB8_1108
; %bb.1097:
	s_cmp_gt_i32 s5, 24
	s_cbranch_scc0 .LBB8_1109
; %bb.1098:
	global_load_ubyte v5, v[0:1], off
	s_mov_b32 s4, 0
	s_mov_b32 s12, exec_lo
	s_waitcnt vmcnt(0)
	v_cmpx_lt_i16_e32 0x7f, v5
	s_xor_b32 s12, exec_lo, s12
	s_cbranch_execz .LBB8_1102
; %bb.1099:
	s_mov_b32 s4, -1
	s_mov_b32 s13, exec_lo
	v_cmpx_eq_u16_e32 0x80, v5
; %bb.1100:
	s_xor_b32 s4, exec_lo, -1
; %bb.1101:
	s_or_b32 exec_lo, exec_lo, s13
	s_and_b32 s4, s4, exec_lo
.LBB8_1102:
	s_or_saveexec_b32 s12, s12
	v_bfrev_b32_e32 v2, 4
	v_mov_b32_e32 v3, 0x7ff80000
	s_xor_b32 exec_lo, exec_lo, s12
; %bb.1103:
	v_cmp_ne_u16_e32 vcc_lo, 0, v5
	v_mov_b32_e32 v2, 0
	v_mov_b32_e32 v3, 0
	s_andn2_b32 s4, s4, exec_lo
	s_and_b32 s13, vcc_lo, exec_lo
	s_or_b32 s4, s4, s13
; %bb.1104:
	s_or_b32 exec_lo, exec_lo, s12
	s_and_saveexec_b32 s12, s4
	s_cbranch_execz .LBB8_1106
; %bb.1105:
	v_and_b32_e32 v2, 0xffff, v5
	v_lshlrev_b32_e32 v5, 24, v5
	v_and_b32_e32 v3, 3, v2
	v_bfe_u32 v8, v2, 2, 5
	v_ffbh_u32_e32 v6, v3
	v_cmp_eq_u32_e32 vcc_lo, 0, v8
	v_min_u32_e32 v6, 32, v6
	v_subrev_nc_u32_e32 v7, 29, v6
	v_sub_nc_u32_e32 v6, 30, v6
	v_lshlrev_b32_e32 v2, v7, v2
	v_cndmask_b32_e32 v6, v8, v6, vcc_lo
	v_and_b32_e32 v2, 3, v2
	v_cndmask_b32_e32 v2, v3, v2, vcc_lo
	v_and_b32_e32 v3, 0x80000000, v5
	v_lshl_add_u32 v5, v6, 23, 0x37800000
	v_lshlrev_b32_e32 v2, 21, v2
	v_or3_b32 v2, v3, v5, v2
	v_cvt_f64_f32_e32 v[2:3], v2
.LBB8_1106:
	s_or_b32 exec_lo, exec_lo, s12
	s_mov_b32 s4, 0
	s_branch .LBB8_1110
.LBB8_1107:
                                        ; implicit-def: $vgpr2_vgpr3
	s_mov_b32 s12, 0
	s_branch .LBB8_1116
.LBB8_1108:
	s_mov_b32 s4, -1
                                        ; implicit-def: $vgpr2_vgpr3
	s_branch .LBB8_1113
.LBB8_1109:
	s_mov_b32 s4, -1
                                        ; implicit-def: $vgpr2_vgpr3
.LBB8_1110:
	s_and_b32 vcc_lo, exec_lo, s4
	s_cbranch_vccz .LBB8_1112
; %bb.1111:
	global_load_ubyte v2, v[0:1], off
	s_waitcnt vmcnt(0)
	v_lshlrev_b32_e32 v2, 24, v2
	v_and_b32_e32 v3, 0x7f000000, v2
	v_ffbh_u32_e32 v5, v3
	v_add_nc_u32_e32 v7, 0x1000000, v3
	v_cmp_ne_u32_e32 vcc_lo, 0, v3
	v_min_u32_e32 v5, 32, v5
	v_sub_nc_u32_e64 v5, v5, 4 clamp
	v_lshlrev_b32_e32 v6, v5, v3
	v_lshlrev_b32_e32 v5, 23, v5
	v_lshrrev_b32_e32 v6, 4, v6
	v_sub_nc_u32_e32 v5, v6, v5
	v_ashrrev_i32_e32 v6, 8, v7
	v_add_nc_u32_e32 v5, 0x3c000000, v5
	v_and_or_b32 v5, 0x7f800000, v6, v5
	v_cndmask_b32_e32 v3, 0, v5, vcc_lo
	v_and_or_b32 v2, 0x80000000, v2, v3
	v_cvt_f64_f32_e32 v[2:3], v2
.LBB8_1112:
	s_mov_b32 s4, 0
.LBB8_1113:
	s_andn2_b32 vcc_lo, exec_lo, s4
	s_cbranch_vccnz .LBB8_1115
; %bb.1114:
	global_load_ubyte v2, v[0:1], off
	s_waitcnt vmcnt(0)
	v_lshlrev_b32_e32 v3, 25, v2
	v_lshlrev_b16 v2, 8, v2
	v_lshrrev_b32_e32 v5, 4, v3
	v_and_or_b32 v6, 0x7f00, v2, 0.5
	v_cmp_gt_u32_e32 vcc_lo, 0x8000000, v3
	v_bfe_i32 v2, v2, 0, 16
	v_or_b32_e32 v5, 0x70000000, v5
	v_add_f32_e32 v6, -0.5, v6
	v_mul_f32_e32 v5, 0x7800000, v5
	v_cndmask_b32_e32 v3, v5, v6, vcc_lo
	v_and_or_b32 v2, 0x80000000, v2, v3
	v_cvt_f64_f32_e32 v[2:3], v2
.LBB8_1115:
	s_mov_b32 s13, -1
	s_mov_b32 s12, 0
	s_cbranch_execnz .LBB8_1124
.LBB8_1116:
	s_cmp_gt_i32 s5, 14
	s_cbranch_scc0 .LBB8_1119
; %bb.1117:
	s_cmp_eq_u32 s5, 15
	s_cbranch_scc0 .LBB8_1120
; %bb.1118:
	global_load_ushort v2, v[0:1], off
	s_mov_b32 s0, 0
	s_mov_b32 s13, -1
	s_waitcnt vmcnt(0)
	v_lshlrev_b32_e32 v2, 16, v2
	v_cvt_f64_f32_e32 v[2:3], v2
	s_branch .LBB8_1121
.LBB8_1119:
	s_mov_b32 s4, -1
                                        ; implicit-def: $vgpr2_vgpr3
	s_branch .LBB8_1122
.LBB8_1120:
	s_mov_b32 s0, -1
                                        ; implicit-def: $vgpr2_vgpr3
.LBB8_1121:
	s_mov_b32 s4, 0
.LBB8_1122:
	s_and_b32 vcc_lo, exec_lo, s4
	s_cbranch_vccz .LBB8_1124
; %bb.1123:
	s_cmp_lg_u32 s5, 11
	s_mov_b32 s12, -1
	s_cselect_b32 s0, -1, 0
.LBB8_1124:
	s_and_b32 vcc_lo, exec_lo, s0
	s_mov_b32 s4, s7
	s_cbranch_vccnz .LBB8_1189
; %bb.1125:
	s_andn2_b32 vcc_lo, exec_lo, s12
	s_cbranch_vccnz .LBB8_1127
.LBB8_1126:
	global_load_ubyte v2, v[0:1], off
	s_mov_b32 s13, -1
	s_waitcnt vmcnt(0)
	v_cmp_ne_u16_e32 vcc_lo, 0, v2
	v_mov_b32_e32 v2, 0
	v_cndmask_b32_e64 v3, 0, 0x3ff00000, vcc_lo
.LBB8_1127:
	s_branch .LBB8_1056
.LBB8_1128:
	s_cmp_lt_i32 s5, 5
	s_cbranch_scc1 .LBB8_1133
; %bb.1129:
	s_cmp_lt_i32 s5, 8
	s_cbranch_scc1 .LBB8_1134
; %bb.1130:
	;; [unrolled: 3-line block ×3, first 2 shown]
	s_cmp_gt_i32 s5, 9
	s_cbranch_scc0 .LBB8_1136
; %bb.1132:
	global_load_dwordx2 v[2:3], v[0:1], off
	s_mov_b32 s0, 0
	s_branch .LBB8_1137
.LBB8_1133:
                                        ; implicit-def: $vgpr2_vgpr3
	s_branch .LBB8_1154
.LBB8_1134:
                                        ; implicit-def: $vgpr2_vgpr3
	s_branch .LBB8_1143
.LBB8_1135:
	s_mov_b32 s0, -1
                                        ; implicit-def: $vgpr2_vgpr3
	s_branch .LBB8_1140
.LBB8_1136:
	s_mov_b32 s0, -1
                                        ; implicit-def: $vgpr2_vgpr3
.LBB8_1137:
	s_andn2_b32 vcc_lo, exec_lo, s0
	s_cbranch_vccnz .LBB8_1139
; %bb.1138:
	global_load_dword v2, v[0:1], off
	s_waitcnt vmcnt(0)
	v_cvt_f64_f32_e32 v[2:3], v2
.LBB8_1139:
	s_mov_b32 s0, 0
.LBB8_1140:
	s_andn2_b32 vcc_lo, exec_lo, s0
	s_cbranch_vccnz .LBB8_1142
; %bb.1141:
	global_load_dword v2, v[0:1], off
	s_waitcnt vmcnt(0)
	v_cvt_f32_f16_e32 v2, v2
	v_cvt_f64_f32_e32 v[2:3], v2
.LBB8_1142:
	s_cbranch_execnz .LBB8_1153
.LBB8_1143:
	s_cmp_lt_i32 s5, 6
	s_cbranch_scc1 .LBB8_1146
; %bb.1144:
	s_cmp_gt_i32 s5, 6
	s_cbranch_scc0 .LBB8_1147
; %bb.1145:
	global_load_dwordx2 v[2:3], v[0:1], off
	s_mov_b32 s0, 0
	s_branch .LBB8_1148
.LBB8_1146:
	s_mov_b32 s0, -1
                                        ; implicit-def: $vgpr2_vgpr3
	s_branch .LBB8_1151
.LBB8_1147:
	s_mov_b32 s0, -1
                                        ; implicit-def: $vgpr2_vgpr3
.LBB8_1148:
	s_andn2_b32 vcc_lo, exec_lo, s0
	s_cbranch_vccnz .LBB8_1150
; %bb.1149:
	global_load_dword v2, v[0:1], off
	s_waitcnt vmcnt(0)
	v_cvt_f64_f32_e32 v[2:3], v2
.LBB8_1150:
	s_mov_b32 s0, 0
.LBB8_1151:
	s_andn2_b32 vcc_lo, exec_lo, s0
	s_cbranch_vccnz .LBB8_1153
; %bb.1152:
	global_load_ushort v2, v[0:1], off
	s_waitcnt vmcnt(0)
	v_cvt_f32_f16_e32 v2, v2
	v_cvt_f64_f32_e32 v[2:3], v2
.LBB8_1153:
	s_cbranch_execnz .LBB8_1172
.LBB8_1154:
	s_cmp_lt_i32 s5, 2
	s_cbranch_scc1 .LBB8_1158
; %bb.1155:
	s_cmp_lt_i32 s5, 3
	s_cbranch_scc1 .LBB8_1159
; %bb.1156:
	s_cmp_gt_i32 s5, 3
	s_cbranch_scc0 .LBB8_1160
; %bb.1157:
	global_load_dwordx2 v[2:3], v[0:1], off
	s_mov_b32 s0, 0
	s_waitcnt vmcnt(0)
	v_cvt_f64_i32_e32 v[5:6], v3
	v_cvt_f64_u32_e32 v[2:3], v2
	v_ldexp_f64 v[5:6], v[5:6], 32
	v_add_f64 v[2:3], v[5:6], v[2:3]
	s_branch .LBB8_1161
.LBB8_1158:
                                        ; implicit-def: $vgpr2_vgpr3
	s_branch .LBB8_1167
.LBB8_1159:
	s_mov_b32 s0, -1
                                        ; implicit-def: $vgpr2_vgpr3
	s_branch .LBB8_1164
.LBB8_1160:
	s_mov_b32 s0, -1
                                        ; implicit-def: $vgpr2_vgpr3
.LBB8_1161:
	s_andn2_b32 vcc_lo, exec_lo, s0
	s_cbranch_vccnz .LBB8_1163
; %bb.1162:
	global_load_dword v2, v[0:1], off
	s_waitcnt vmcnt(0)
	v_cvt_f64_i32_e32 v[2:3], v2
.LBB8_1163:
	s_mov_b32 s0, 0
.LBB8_1164:
	s_andn2_b32 vcc_lo, exec_lo, s0
	s_cbranch_vccnz .LBB8_1166
; %bb.1165:
	global_load_sshort v2, v[0:1], off
	s_waitcnt vmcnt(0)
	v_cvt_f64_i32_e32 v[2:3], v2
.LBB8_1166:
	s_cbranch_execnz .LBB8_1172
.LBB8_1167:
	s_cmp_gt_i32 s5, 0
	s_mov_b32 s0, 0
	s_cbranch_scc0 .LBB8_1169
; %bb.1168:
	global_load_sbyte v2, v[0:1], off
	s_waitcnt vmcnt(0)
	v_cvt_f64_i32_e32 v[2:3], v2
	s_branch .LBB8_1170
.LBB8_1169:
	s_mov_b32 s0, -1
                                        ; implicit-def: $vgpr2_vgpr3
.LBB8_1170:
	s_andn2_b32 vcc_lo, exec_lo, s0
	s_cbranch_vccnz .LBB8_1172
; %bb.1171:
	global_load_ubyte v0, v[0:1], off
	s_waitcnt vmcnt(0)
	v_cvt_f64_u32_e32 v[2:3], v0
.LBB8_1172:
                                        ; implicit-def: $vgpr14_vgpr15
.LBB8_1173:
	s_waitcnt vmcnt(0)
	v_cmp_ge_f64_e64 s0, 0x40200000, |v[2:3]|
                                        ; implicit-def: $vgpr0_vgpr1
	s_and_saveexec_b32 s12, s0
	s_xor_b32 s0, exec_lo, s12
	s_cbranch_execz .LBB8_1175
; %bb.1174:
	v_fma_f64 v[0:1], |v[2:3]|, 0.5, -2.0
	s_mov_b32 s12, 0x977da589
	s_mov_b32 s13, 0x3c833362
	;; [unrolled: 1-line block ×4, first 2 shown]
	v_fma_f64 v[5:6], v[0:1], s[14:15], s[12:13]
	s_mov_b32 s15, 0x3c545cb7
	s_mov_b32 s12, 0x721ebbb4
	;; [unrolled: 1-line block ×3, first 2 shown]
	v_fma_f64 v[7:8], v[0:1], v[5:6], s[14:15]
	s_mov_b32 s14, 0x3b39803f
	s_mov_b32 s15, 0xbc7abc9e
	v_add_f64 v[7:8], v[7:8], s[12:13]
	s_mov_b32 s12, 0x93f65eba
	s_mov_b32 s13, 0x3cdee6d8
	v_fma_f64 v[5:6], v[0:1], v[7:8], -v[5:6]
	v_add_f64 v[5:6], v[5:6], s[12:13]
	s_mov_b32 s12, 0xc297fbeb
	s_mov_b32 s13, 0xbd0a5022
	v_fma_f64 v[7:8], v[0:1], v[5:6], -v[7:8]
	;; [unrolled: 4-line block ×20, first 2 shown]
	v_add_f64 v[7:8], v[7:8], s[12:13]
	s_mov_b32 s12, 0x652b82fe
	s_mov_b32 s13, 0x3ff71547
	v_mul_f64 v[11:12], |v[2:3]|, s[12:13]
	s_mov_b32 s12, 0xf3dde3dd
	s_mov_b32 s13, 0x3f859961
	v_fma_f64 v[5:6], v[0:1], v[7:8], -v[5:6]
	v_rndne_f64_e32 v[11:12], v[11:12]
	v_add_f64 v[5:6], v[5:6], s[12:13]
	s_mov_b32 s12, 0xfefa39ef
	s_mov_b32 s13, 0xbfe62e42
	v_fma_f64 v[2:3], v[11:12], s[12:13], |v[2:3]|
	s_mov_b32 s12, 0xf121b6f0
	s_mov_b32 s13, 0xbf984e9e
	v_fma_f64 v[7:8], v[0:1], v[5:6], -v[7:8]
	v_fma_f64 v[2:3], v[11:12], s[14:15], v[2:3]
	s_mov_b32 s14, 0x6a5dcb37
	s_mov_b32 s15, 0x3e5ade15
	v_add_f64 v[7:8], v[7:8], s[12:13]
	s_mov_b32 s12, 0xfca7ab0c
	s_mov_b32 s13, 0x3e928af3
	v_fma_f64 v[13:14], v[2:3], s[14:15], s[12:13]
	s_mov_b32 s12, 0xcea8a32d
	s_mov_b32 s14, 0x623fde64
	;; [unrolled: 1-line block ×4, first 2 shown]
	v_fma_f64 v[5:6], v[0:1], v[7:8], -v[5:6]
	v_fma_f64 v[13:14], v[2:3], v[13:14], s[14:15]
	s_mov_b32 s14, 0x14761f6e
	s_mov_b32 s15, 0x3f2a01a0
	v_add_f64 v[5:6], v[5:6], s[12:13]
	s_mov_b32 s12, 0x7c89e6b0
	s_mov_b32 s13, 0x3efa0199
	v_fma_f64 v[13:14], v[2:3], v[13:14], s[12:13]
	s_mov_b32 s12, 0x342d06ea
	s_mov_b32 s13, 0xbfb84b70
	v_fma_f64 v[7:8], v[0:1], v[5:6], -v[7:8]
	v_fma_f64 v[13:14], v[2:3], v[13:14], s[14:15]
	s_mov_b32 s14, 0x11122322
	s_mov_b32 s15, 0x3f811111
	v_add_f64 v[7:8], v[7:8], s[12:13]
	s_mov_b32 s12, 0x1852b7b0
	s_mov_b32 s13, 0x3f56c16c
	v_fma_f64 v[13:14], v[2:3], v[13:14], s[12:13]
	s_mov_b32 s12, 0x77ac88c0
	s_mov_b32 s13, 0x3fc5f7ac
	;; [unrolled: 10-line block ×3, first 2 shown]
	v_fma_f64 v[7:8], v[0:1], v[5:6], -v[7:8]
	v_fma_f64 v[13:14], v[2:3], v[13:14], s[14:15]
	v_add_f64 v[7:8], v[7:8], s[12:13]
	s_mov_b32 s12, 11
	s_mov_b32 s13, 0x3fe00000
	v_fma_f64 v[13:14], v[2:3], v[13:14], s[12:13]
	s_mov_b32 s12, 0x9035a22a
	s_mov_b32 s13, 0x3fe5a84e
	v_fma_f64 v[0:1], v[0:1], v[7:8], -v[5:6]
	v_fma_f64 v[7:8], v[2:3], v[13:14], 1.0
	v_add_f64 v[0:1], v[0:1], s[12:13]
	v_fma_f64 v[2:3], v[2:3], v[7:8], 1.0
	v_cvt_i32_f64_e32 v7, v[11:12]
	v_add_f64 v[0:1], v[0:1], -v[5:6]
	v_ldexp_f64 v[2:3], v[2:3], v7
	v_mul_f64 v[0:1], v[0:1], 0.5
	v_mul_f64 v[0:1], v[2:3], v[0:1]
                                        ; implicit-def: $vgpr2_vgpr3
.LBB8_1175:
	s_andn2_saveexec_b32 s12, s0
	s_cbranch_execz .LBB8_1177
; %bb.1176:
	v_and_b32_e32 v1, 0x7fffffff, v3
	v_mov_b32_e32 v0, v2
	s_mov_b32 s14, 0x66119130
	s_mov_b32 s15, 0xbc5646da
	;; [unrolled: 1-line block ×4, first 2 shown]
	v_div_scale_f64 v[5:6], null, v[0:1], v[0:1], 0x40400000
	v_div_scale_f64 v[0:1], vcc_lo, 0x40400000, v[0:1], 0x40400000
	v_cmp_gt_f64_e64 s0, 0x10000000, |v[2:3]|
	v_rcp_f64_e32 v[7:8], v[5:6]
	v_cndmask_b32_e64 v9, 0, 0x100, s0
	v_ldexp_f64 v[17:18], |v[2:3]|, v9
	v_fma_f64 v[11:12], -v[5:6], v[7:8], 1.0
	v_rsq_f64_e32 v[19:20], v[17:18]
	v_fma_f64 v[7:8], v[7:8], v[11:12], v[7:8]
	v_mul_f64 v[21:22], v[17:18], v[19:20]
	v_mul_f64 v[19:20], v[19:20], 0.5
	v_fma_f64 v[11:12], -v[5:6], v[7:8], 1.0
	v_fma_f64 v[23:24], -v[19:20], v[21:22], 0.5
	v_fma_f64 v[7:8], v[7:8], v[11:12], v[7:8]
	v_fma_f64 v[21:22], v[21:22], v[23:24], v[21:22]
	;; [unrolled: 1-line block ×3, first 2 shown]
	v_mul_f64 v[11:12], v[0:1], v[7:8]
	v_fma_f64 v[23:24], -v[21:22], v[21:22], v[17:18]
	v_fma_f64 v[0:1], -v[5:6], v[11:12], v[0:1]
	v_div_fmas_f64 v[0:1], v[0:1], v[7:8], v[11:12]
	v_cmp_nlt_f64_e64 vcc_lo, 0x40900000, |v[2:3]|
	v_div_fixup_f64 v[0:1], v[0:1], |v[2:3]|, 0x40400000
	v_add_f64 v[0:1], v[0:1], -2.0
	v_fma_f64 v[5:6], v[0:1], s[16:17], s[14:15]
	s_mov_b32 s17, 0x3c60adb7
	s_mov_b32 s14, 0x12d98421
	;; [unrolled: 1-line block ×3, first 2 shown]
	v_fma_f64 v[7:8], v[0:1], v[5:6], s[16:17]
	s_mov_b32 s16, 0x6a5dcb37
	s_mov_b32 s17, 0x3e5ade15
	v_add_f64 v[7:8], v[7:8], s[14:15]
	s_mov_b32 s14, 0x76041cd
	s_mov_b32 s15, 0x3c83f3dd
	v_fma_f64 v[5:6], v[0:1], v[7:8], -v[5:6]
	v_add_f64 v[5:6], v[5:6], s[14:15]
	s_mov_b32 s14, 0xabd21fe4
	s_mov_b32 s15, 0xbcb4600b
	v_fma_f64 v[7:8], v[0:1], v[5:6], -v[7:8]
	;; [unrolled: 4-line block ×15, first 2 shown]
	v_add_f64 v[5:6], v[5:6], s[14:15]
	s_mov_b32 s14, 0x652b82fe
	s_mov_b32 s15, 0x3ff71547
	v_mul_f64 v[11:12], |v[2:3]|, s[14:15]
	s_mov_b32 s14, 0xa9225b87
	s_mov_b32 s15, 0x3e2d2c64
	v_fma_f64 v[7:8], v[0:1], v[5:6], -v[7:8]
	v_rndne_f64_e32 v[11:12], v[11:12]
	v_add_f64 v[7:8], v[7:8], s[14:15]
	s_mov_b32 s14, 0xfefa39ef
	s_mov_b32 s15, 0xbfe62e42
	v_fma_f64 v[13:14], v[11:12], s[14:15], |v[2:3]|
	s_mov_b32 s14, 0x3b39803f
	s_mov_b32 s15, 0xbc7abc9e
	v_cvt_i32_f64_e32 v9, v[11:12]
	v_cndmask_b32_e64 v2, 0, 0xffffff80, s0
	v_cmp_class_f64_e64 s0, v[17:18], 0x260
	v_fma_f64 v[5:6], v[0:1], v[7:8], -v[5:6]
	v_fma_f64 v[13:14], v[11:12], s[14:15], v[13:14]
	s_mov_b32 s14, 0x80d6d56d
	s_mov_b32 s15, 0x3e585692
	v_add_f64 v[5:6], v[5:6], s[14:15]
	s_mov_b32 s14, 0xfca7ab0c
	s_mov_b32 s15, 0x3e928af3
	v_fma_f64 v[15:16], v[13:14], s[16:17], s[14:15]
	s_mov_b32 s14, 0x623fde64
	s_mov_b32 s15, 0x3ec71dee
	v_fma_f64 v[7:8], v[0:1], v[5:6], -v[7:8]
	v_fma_f64 v[15:16], v[13:14], v[15:16], s[14:15]
	s_mov_b32 s14, 0xd9cd616e
	s_mov_b32 s15, 0x3e8b8007
	v_add_f64 v[7:8], v[7:8], s[14:15]
	s_mov_b32 s14, 0x7c89e6b0
	s_mov_b32 s15, 0x3efa0199
	v_fma_f64 v[15:16], v[13:14], v[15:16], s[14:15]
	s_mov_b32 s14, 0x14761f6e
	s_mov_b32 s15, 0x3f2a01a0
	;; [unrolled: 10-line block ×5, first 2 shown]
	v_fma_f64 v[0:1], v[0:1], v[5:6], -v[7:8]
	v_fma_f64 v[5:6], v[23:24], v[19:20], v[21:22]
	v_fma_f64 v[15:16], v[13:14], v[15:16], 1.0
	v_add_f64 v[0:1], v[0:1], s[14:15]
	v_fma_f64 v[21:22], -v[5:6], v[5:6], v[17:18]
	v_fma_f64 v[11:12], v[13:14], v[15:16], 1.0
	v_add_f64 v[0:1], v[0:1], -v[7:8]
	v_fma_f64 v[5:6], v[21:22], v[19:20], v[5:6]
	v_ldexp_f64 v[7:8], v[11:12], v9
	v_mul_f64 v[0:1], v[0:1], 0.5
	v_ldexp_f64 v[2:3], v[5:6], v2
	v_cndmask_b32_e32 v6, 0x7ff00000, v8, vcc_lo
	v_cndmask_b32_e32 v5, 0, v7, vcc_lo
	v_mul_f64 v[0:1], v[5:6], v[0:1]
	v_cndmask_b32_e64 v3, v3, v18, s0
	v_cndmask_b32_e64 v2, v2, v17, s0
	v_div_scale_f64 v[5:6], null, v[2:3], v[2:3], v[0:1]
	v_rcp_f64_e32 v[7:8], v[5:6]
	v_fma_f64 v[11:12], -v[5:6], v[7:8], 1.0
	v_fma_f64 v[7:8], v[7:8], v[11:12], v[7:8]
	v_fma_f64 v[11:12], -v[5:6], v[7:8], 1.0
	v_fma_f64 v[7:8], v[7:8], v[11:12], v[7:8]
	v_div_scale_f64 v[11:12], vcc_lo, v[0:1], v[2:3], v[0:1]
	v_mul_f64 v[13:14], v[11:12], v[7:8]
	v_fma_f64 v[5:6], -v[5:6], v[13:14], v[11:12]
	v_div_fmas_f64 v[5:6], v[5:6], v[7:8], v[13:14]
	v_div_fixup_f64 v[0:1], v[5:6], v[2:3], v[0:1]
.LBB8_1177:
	s_or_b32 exec_lo, exec_lo, s12
	s_lshl_b32 s3, s3, 7
	s_cmp_lt_i32 s5, 11
	v_add_nc_u32_e32 v6, s3, v4
	v_ashrrev_i32_e32 v2, 31, v6
	v_add_co_u32 v4, vcc_lo, s10, v6
	v_add_co_ci_u32_e64 v5, null, s11, v2, vcc_lo
	s_cbranch_scc1 .LBB8_1184
; %bb.1178:
	s_cmp_gt_i32 s5, 25
	s_mov_b32 s12, 0
	s_cbranch_scc0 .LBB8_1186
; %bb.1179:
	s_cmp_gt_i32 s5, 28
	s_cbranch_scc0 .LBB8_1187
; %bb.1180:
	s_cmp_gt_i32 s5, 43
	;; [unrolled: 3-line block ×3, first 2 shown]
	s_cbranch_scc0 .LBB8_1190
; %bb.1182:
	s_cmp_eq_u32 s5, 46
	s_mov_b32 s14, 0
	s_cbranch_scc0 .LBB8_1193
; %bb.1183:
	global_load_dword v2, v[4:5], off
	s_mov_b32 s0, 0
	s_mov_b32 s13, -1
	s_waitcnt vmcnt(0)
	v_lshlrev_b32_e32 v2, 16, v2
	v_cvt_f64_f32_e32 v[2:3], v2
	s_branch .LBB8_1195
.LBB8_1184:
	s_mov_b32 s13, 0
                                        ; implicit-def: $vgpr2_vgpr3
	s_cbranch_execnz .LBB8_1260
.LBB8_1185:
	s_andn2_b32 vcc_lo, exec_lo, s13
	s_cbranch_vccnz .LBB8_1658
	s_branch .LBB8_1307
.LBB8_1186:
	s_mov_b32 s13, 0
	s_mov_b32 s0, 0
                                        ; implicit-def: $vgpr2_vgpr3
	s_cbranch_execnz .LBB8_1226
	s_branch .LBB8_1256
.LBB8_1187:
	s_mov_b32 s14, -1
	s_mov_b32 s13, 0
	s_mov_b32 s0, 0
                                        ; implicit-def: $vgpr2_vgpr3
	s_branch .LBB8_1205
.LBB8_1188:
	s_mov_b32 s14, -1
	s_mov_b32 s13, 0
	s_mov_b32 s0, 0
                                        ; implicit-def: $vgpr2_vgpr3
	s_branch .LBB8_1200
.LBB8_1189:
	s_or_b32 s4, s7, exec_lo
	s_trap 2
	s_cbranch_execz .LBB8_1126
	s_branch .LBB8_1127
.LBB8_1190:
	s_mov_b32 s14, -1
	s_mov_b32 s13, 0
	s_mov_b32 s0, 0
	s_branch .LBB8_1194
.LBB8_1191:
	s_andn2_saveexec_b32 s19, s19
	s_cbranch_execz .LBB8_972
.LBB8_1192:
	v_add_f32_e64 v3, 0x42800000, |v2|
	s_andn2_b32 s18, s18, exec_lo
	v_and_b32_e32 v3, 0xff, v3
	v_cmp_ne_u32_e32 vcc_lo, 0, v3
	s_and_b32 s20, vcc_lo, exec_lo
	s_or_b32 s18, s18, s20
	s_or_b32 exec_lo, exec_lo, s19
	v_mov_b32_e32 v6, 0
	s_and_saveexec_b32 s19, s18
	s_cbranch_execnz .LBB8_973
	s_branch .LBB8_974
.LBB8_1193:
	s_mov_b32 s0, -1
	s_mov_b32 s13, 0
.LBB8_1194:
                                        ; implicit-def: $vgpr2_vgpr3
.LBB8_1195:
	s_and_b32 vcc_lo, exec_lo, s14
	s_cbranch_vccz .LBB8_1199
; %bb.1196:
	s_cmp_eq_u32 s5, 44
	s_cbranch_scc0 .LBB8_1198
; %bb.1197:
	global_load_ubyte v7, v[4:5], off
	s_mov_b32 s0, 0
	s_mov_b32 s13, -1
	s_waitcnt vmcnt(0)
	v_lshlrev_b32_e32 v2, 23, v7
	v_cmp_ne_u32_e32 vcc_lo, 0xff, v7
	v_cvt_f64_f32_e32 v[2:3], v2
	v_cndmask_b32_e32 v2, 0x20000000, v2, vcc_lo
	v_cndmask_b32_e32 v3, 0x7ff80000, v3, vcc_lo
	v_cmp_ne_u32_e32 vcc_lo, 0, v7
	v_cndmask_b32_e32 v3, 0x38000000, v3, vcc_lo
	v_cndmask_b32_e32 v2, 0, v2, vcc_lo
	s_branch .LBB8_1199
.LBB8_1198:
	s_mov_b32 s0, -1
                                        ; implicit-def: $vgpr2_vgpr3
.LBB8_1199:
	s_mov_b32 s14, 0
.LBB8_1200:
	s_and_b32 vcc_lo, exec_lo, s14
	s_cbranch_vccz .LBB8_1204
; %bb.1201:
	s_cmp_eq_u32 s5, 29
	s_cbranch_scc0 .LBB8_1203
; %bb.1202:
	global_load_dwordx2 v[2:3], v[4:5], off
	s_mov_b32 s0, 0
	s_mov_b32 s13, -1
	s_mov_b32 s14, 0
	s_waitcnt vmcnt(0)
	v_cvt_f64_u32_e32 v[7:8], v3
	v_cvt_f64_u32_e32 v[2:3], v2
	v_ldexp_f64 v[7:8], v[7:8], 32
	v_add_f64 v[2:3], v[7:8], v[2:3]
	s_branch .LBB8_1205
.LBB8_1203:
	s_mov_b32 s0, -1
                                        ; implicit-def: $vgpr2_vgpr3
.LBB8_1204:
	s_mov_b32 s14, 0
.LBB8_1205:
	s_and_b32 vcc_lo, exec_lo, s14
	s_cbranch_vccz .LBB8_1225
; %bb.1206:
	s_cmp_lt_i32 s5, 27
	s_cbranch_scc1 .LBB8_1209
; %bb.1207:
	s_cmp_gt_i32 s5, 27
	s_cbranch_scc0 .LBB8_1210
; %bb.1208:
	global_load_dword v2, v[4:5], off
	s_mov_b32 s13, 0
	s_waitcnt vmcnt(0)
	v_cvt_f64_u32_e32 v[2:3], v2
	s_branch .LBB8_1211
.LBB8_1209:
	s_mov_b32 s13, -1
                                        ; implicit-def: $vgpr2_vgpr3
	s_branch .LBB8_1214
.LBB8_1210:
	s_mov_b32 s13, -1
                                        ; implicit-def: $vgpr2_vgpr3
.LBB8_1211:
	s_andn2_b32 vcc_lo, exec_lo, s13
	s_cbranch_vccnz .LBB8_1213
; %bb.1212:
	global_load_ushort v2, v[4:5], off
	s_waitcnt vmcnt(0)
	v_cvt_f64_u32_e32 v[2:3], v2
.LBB8_1213:
	s_mov_b32 s13, 0
.LBB8_1214:
	s_andn2_b32 vcc_lo, exec_lo, s13
	s_cbranch_vccnz .LBB8_1224
; %bb.1215:
	global_load_ubyte v7, v[4:5], off
	s_mov_b32 s13, 0
	s_mov_b32 s14, exec_lo
	s_waitcnt vmcnt(0)
	v_cmpx_lt_i16_e32 0x7f, v7
	s_xor_b32 s14, exec_lo, s14
	s_cbranch_execz .LBB8_1219
; %bb.1216:
	s_mov_b32 s13, -1
	s_mov_b32 s15, exec_lo
	v_cmpx_eq_u16_e32 0x80, v7
; %bb.1217:
	s_xor_b32 s13, exec_lo, -1
; %bb.1218:
	s_or_b32 exec_lo, exec_lo, s15
	s_and_b32 s13, s13, exec_lo
.LBB8_1219:
	s_or_saveexec_b32 s14, s14
	v_bfrev_b32_e32 v2, 4
	v_mov_b32_e32 v3, 0x7ff80000
	s_xor_b32 exec_lo, exec_lo, s14
; %bb.1220:
	v_cmp_ne_u16_e32 vcc_lo, 0, v7
	v_mov_b32_e32 v2, 0
	v_mov_b32_e32 v3, 0
	s_andn2_b32 s13, s13, exec_lo
	s_and_b32 s15, vcc_lo, exec_lo
	s_or_b32 s13, s13, s15
; %bb.1221:
	s_or_b32 exec_lo, exec_lo, s14
	s_and_saveexec_b32 s14, s13
	s_cbranch_execz .LBB8_1223
; %bb.1222:
	v_and_b32_e32 v2, 0xffff, v7
	v_lshlrev_b32_e32 v7, 24, v7
	v_and_b32_e32 v3, 7, v2
	v_bfe_u32 v11, v2, 3, 4
	v_ffbh_u32_e32 v8, v3
	v_cmp_eq_u32_e32 vcc_lo, 0, v11
	v_min_u32_e32 v8, 32, v8
	v_subrev_nc_u32_e32 v9, 28, v8
	v_sub_nc_u32_e32 v8, 29, v8
	v_lshlrev_b32_e32 v2, v9, v2
	v_cndmask_b32_e32 v8, v11, v8, vcc_lo
	v_and_b32_e32 v2, 7, v2
	v_cndmask_b32_e32 v2, v3, v2, vcc_lo
	v_and_b32_e32 v3, 0x80000000, v7
	v_lshl_add_u32 v7, v8, 23, 0x3b800000
	v_lshlrev_b32_e32 v2, 20, v2
	v_or3_b32 v2, v3, v7, v2
	v_cvt_f64_f32_e32 v[2:3], v2
.LBB8_1223:
	s_or_b32 exec_lo, exec_lo, s14
.LBB8_1224:
	s_mov_b32 s13, -1
.LBB8_1225:
	s_branch .LBB8_1256
.LBB8_1226:
	s_cmp_gt_i32 s5, 22
	s_cbranch_scc0 .LBB8_1238
; %bb.1227:
	s_cmp_lt_i32 s5, 24
	s_cbranch_scc1 .LBB8_1239
; %bb.1228:
	s_cmp_gt_i32 s5, 24
	s_cbranch_scc0 .LBB8_1240
; %bb.1229:
	global_load_ubyte v7, v[4:5], off
	s_mov_b32 s13, exec_lo
	s_waitcnt vmcnt(0)
	v_cmpx_lt_i16_e32 0x7f, v7
	s_xor_b32 s13, exec_lo, s13
	s_cbranch_execz .LBB8_1233
; %bb.1230:
	s_mov_b32 s12, -1
	s_mov_b32 s14, exec_lo
	v_cmpx_eq_u16_e32 0x80, v7
; %bb.1231:
	s_xor_b32 s12, exec_lo, -1
; %bb.1232:
	s_or_b32 exec_lo, exec_lo, s14
	s_and_b32 s12, s12, exec_lo
.LBB8_1233:
	s_or_saveexec_b32 s13, s13
	v_bfrev_b32_e32 v2, 4
	v_mov_b32_e32 v3, 0x7ff80000
	s_xor_b32 exec_lo, exec_lo, s13
; %bb.1234:
	v_cmp_ne_u16_e32 vcc_lo, 0, v7
	v_mov_b32_e32 v2, 0
	v_mov_b32_e32 v3, 0
	s_andn2_b32 s12, s12, exec_lo
	s_and_b32 s14, vcc_lo, exec_lo
	s_or_b32 s12, s12, s14
; %bb.1235:
	s_or_b32 exec_lo, exec_lo, s13
	s_and_saveexec_b32 s13, s12
	s_cbranch_execz .LBB8_1237
; %bb.1236:
	v_and_b32_e32 v2, 0xffff, v7
	v_lshlrev_b32_e32 v7, 24, v7
	v_and_b32_e32 v3, 3, v2
	v_bfe_u32 v11, v2, 2, 5
	v_ffbh_u32_e32 v8, v3
	v_cmp_eq_u32_e32 vcc_lo, 0, v11
	v_min_u32_e32 v8, 32, v8
	v_subrev_nc_u32_e32 v9, 29, v8
	v_sub_nc_u32_e32 v8, 30, v8
	v_lshlrev_b32_e32 v2, v9, v2
	v_cndmask_b32_e32 v8, v11, v8, vcc_lo
	v_and_b32_e32 v2, 3, v2
	v_cndmask_b32_e32 v2, v3, v2, vcc_lo
	v_and_b32_e32 v3, 0x80000000, v7
	v_lshl_add_u32 v7, v8, 23, 0x37800000
	v_lshlrev_b32_e32 v2, 21, v2
	v_or3_b32 v2, v3, v7, v2
	v_cvt_f64_f32_e32 v[2:3], v2
.LBB8_1237:
	s_or_b32 exec_lo, exec_lo, s13
	s_mov_b32 s12, 0
	s_branch .LBB8_1241
.LBB8_1238:
	s_mov_b32 s12, -1
                                        ; implicit-def: $vgpr2_vgpr3
	s_branch .LBB8_1247
.LBB8_1239:
	s_mov_b32 s12, -1
                                        ; implicit-def: $vgpr2_vgpr3
	s_branch .LBB8_1244
.LBB8_1240:
	s_mov_b32 s12, -1
                                        ; implicit-def: $vgpr2_vgpr3
.LBB8_1241:
	s_and_b32 vcc_lo, exec_lo, s12
	s_cbranch_vccz .LBB8_1243
; %bb.1242:
	global_load_ubyte v2, v[4:5], off
	s_waitcnt vmcnt(0)
	v_lshlrev_b32_e32 v2, 24, v2
	v_and_b32_e32 v3, 0x7f000000, v2
	v_ffbh_u32_e32 v7, v3
	v_add_nc_u32_e32 v9, 0x1000000, v3
	v_cmp_ne_u32_e32 vcc_lo, 0, v3
	v_min_u32_e32 v7, 32, v7
	v_sub_nc_u32_e64 v7, v7, 4 clamp
	v_lshlrev_b32_e32 v8, v7, v3
	v_lshlrev_b32_e32 v7, 23, v7
	v_lshrrev_b32_e32 v8, 4, v8
	v_sub_nc_u32_e32 v7, v8, v7
	v_ashrrev_i32_e32 v8, 8, v9
	v_add_nc_u32_e32 v7, 0x3c000000, v7
	v_and_or_b32 v7, 0x7f800000, v8, v7
	v_cndmask_b32_e32 v3, 0, v7, vcc_lo
	v_and_or_b32 v2, 0x80000000, v2, v3
	v_cvt_f64_f32_e32 v[2:3], v2
.LBB8_1243:
	s_mov_b32 s12, 0
.LBB8_1244:
	s_andn2_b32 vcc_lo, exec_lo, s12
	s_cbranch_vccnz .LBB8_1246
; %bb.1245:
	global_load_ubyte v2, v[4:5], off
	s_waitcnt vmcnt(0)
	v_lshlrev_b32_e32 v3, 25, v2
	v_lshlrev_b16 v2, 8, v2
	v_lshrrev_b32_e32 v7, 4, v3
	v_and_or_b32 v8, 0x7f00, v2, 0.5
	v_cmp_gt_u32_e32 vcc_lo, 0x8000000, v3
	v_bfe_i32 v2, v2, 0, 16
	v_or_b32_e32 v7, 0x70000000, v7
	v_add_f32_e32 v8, -0.5, v8
	v_mul_f32_e32 v7, 0x7800000, v7
	v_cndmask_b32_e32 v3, v7, v8, vcc_lo
	v_and_or_b32 v2, 0x80000000, v2, v3
	v_cvt_f64_f32_e32 v[2:3], v2
.LBB8_1246:
	s_mov_b32 s12, 0
	s_mov_b32 s13, -1
.LBB8_1247:
	s_andn2_b32 vcc_lo, exec_lo, s12
	s_mov_b32 s12, 0
	s_cbranch_vccnz .LBB8_1256
; %bb.1248:
	s_cmp_gt_i32 s5, 14
	s_cbranch_scc0 .LBB8_1251
; %bb.1249:
	s_cmp_eq_u32 s5, 15
	s_cbranch_scc0 .LBB8_1252
; %bb.1250:
	global_load_ushort v2, v[4:5], off
	s_mov_b32 s0, 0
	s_mov_b32 s13, -1
	s_waitcnt vmcnt(0)
	v_lshlrev_b32_e32 v2, 16, v2
	v_cvt_f64_f32_e32 v[2:3], v2
	s_branch .LBB8_1254
.LBB8_1251:
	s_mov_b32 s12, -1
	s_branch .LBB8_1253
.LBB8_1252:
	s_mov_b32 s0, -1
.LBB8_1253:
                                        ; implicit-def: $vgpr2_vgpr3
.LBB8_1254:
	s_and_b32 vcc_lo, exec_lo, s12
	s_mov_b32 s12, 0
	s_cbranch_vccz .LBB8_1256
; %bb.1255:
	s_cmp_lg_u32 s5, 11
	s_mov_b32 s12, -1
	s_cselect_b32 s0, -1, 0
.LBB8_1256:
	s_and_b32 vcc_lo, exec_lo, s0
	s_cbranch_vccnz .LBB8_1323
; %bb.1257:
	s_andn2_b32 vcc_lo, exec_lo, s12
	s_cbranch_vccnz .LBB8_1259
.LBB8_1258:
	global_load_ubyte v2, v[4:5], off
	s_mov_b32 s13, -1
	s_waitcnt vmcnt(0)
	v_cmp_ne_u16_e32 vcc_lo, 0, v2
	v_mov_b32_e32 v2, 0
	v_cndmask_b32_e64 v3, 0, 0x3ff00000, vcc_lo
.LBB8_1259:
	s_branch .LBB8_1185
.LBB8_1260:
	s_cmp_lt_i32 s5, 5
	s_cbranch_scc1 .LBB8_1265
; %bb.1261:
	s_cmp_lt_i32 s5, 8
	s_cbranch_scc1 .LBB8_1266
; %bb.1262:
	;; [unrolled: 3-line block ×3, first 2 shown]
	s_cmp_gt_i32 s5, 9
	s_cbranch_scc0 .LBB8_1268
; %bb.1264:
	global_load_dwordx2 v[2:3], v[4:5], off
	s_mov_b32 s0, 0
	s_branch .LBB8_1269
.LBB8_1265:
                                        ; implicit-def: $vgpr2_vgpr3
	s_branch .LBB8_1287
.LBB8_1266:
	s_mov_b32 s0, -1
                                        ; implicit-def: $vgpr2_vgpr3
	s_branch .LBB8_1275
.LBB8_1267:
	s_mov_b32 s0, -1
                                        ; implicit-def: $vgpr2_vgpr3
	s_branch .LBB8_1272
.LBB8_1268:
	s_mov_b32 s0, -1
                                        ; implicit-def: $vgpr2_vgpr3
.LBB8_1269:
	s_andn2_b32 vcc_lo, exec_lo, s0
	s_cbranch_vccnz .LBB8_1271
; %bb.1270:
	global_load_dword v2, v[4:5], off
	s_waitcnt vmcnt(0)
	v_cvt_f64_f32_e32 v[2:3], v2
.LBB8_1271:
	s_mov_b32 s0, 0
.LBB8_1272:
	s_andn2_b32 vcc_lo, exec_lo, s0
	s_cbranch_vccnz .LBB8_1274
; %bb.1273:
	global_load_dword v2, v[4:5], off
	s_waitcnt vmcnt(0)
	v_cvt_f32_f16_e32 v2, v2
	v_cvt_f64_f32_e32 v[2:3], v2
.LBB8_1274:
	s_mov_b32 s0, 0
.LBB8_1275:
	s_andn2_b32 vcc_lo, exec_lo, s0
	s_cbranch_vccnz .LBB8_1286
; %bb.1276:
	s_cmp_lt_i32 s5, 6
	s_cbranch_scc1 .LBB8_1279
; %bb.1277:
	s_cmp_gt_i32 s5, 6
	s_cbranch_scc0 .LBB8_1280
; %bb.1278:
	global_load_dwordx2 v[2:3], v[4:5], off
	s_mov_b32 s0, 0
	s_branch .LBB8_1281
.LBB8_1279:
	s_mov_b32 s0, -1
                                        ; implicit-def: $vgpr2_vgpr3
	s_branch .LBB8_1284
.LBB8_1280:
	s_mov_b32 s0, -1
                                        ; implicit-def: $vgpr2_vgpr3
.LBB8_1281:
	s_andn2_b32 vcc_lo, exec_lo, s0
	s_cbranch_vccnz .LBB8_1283
; %bb.1282:
	global_load_dword v2, v[4:5], off
	s_waitcnt vmcnt(0)
	v_cvt_f64_f32_e32 v[2:3], v2
.LBB8_1283:
	s_mov_b32 s0, 0
.LBB8_1284:
	s_andn2_b32 vcc_lo, exec_lo, s0
	s_cbranch_vccnz .LBB8_1286
; %bb.1285:
	global_load_ushort v2, v[4:5], off
	s_waitcnt vmcnt(0)
	v_cvt_f32_f16_e32 v2, v2
	v_cvt_f64_f32_e32 v[2:3], v2
.LBB8_1286:
	s_cbranch_execnz .LBB8_1306
.LBB8_1287:
	s_cmp_lt_i32 s5, 2
	s_cbranch_scc1 .LBB8_1291
; %bb.1288:
	s_cmp_lt_i32 s5, 3
	s_cbranch_scc1 .LBB8_1292
; %bb.1289:
	s_cmp_gt_i32 s5, 3
	s_cbranch_scc0 .LBB8_1293
; %bb.1290:
	global_load_dwordx2 v[2:3], v[4:5], off
	s_mov_b32 s0, 0
	s_waitcnt vmcnt(0)
	v_cvt_f64_i32_e32 v[7:8], v3
	v_cvt_f64_u32_e32 v[2:3], v2
	v_ldexp_f64 v[7:8], v[7:8], 32
	v_add_f64 v[2:3], v[7:8], v[2:3]
	s_branch .LBB8_1294
.LBB8_1291:
	s_mov_b32 s0, -1
                                        ; implicit-def: $vgpr2_vgpr3
	s_branch .LBB8_1300
.LBB8_1292:
	s_mov_b32 s0, -1
                                        ; implicit-def: $vgpr2_vgpr3
	s_branch .LBB8_1297
.LBB8_1293:
	s_mov_b32 s0, -1
                                        ; implicit-def: $vgpr2_vgpr3
.LBB8_1294:
	s_andn2_b32 vcc_lo, exec_lo, s0
	s_cbranch_vccnz .LBB8_1296
; %bb.1295:
	global_load_dword v2, v[4:5], off
	s_waitcnt vmcnt(0)
	v_cvt_f64_i32_e32 v[2:3], v2
.LBB8_1296:
	s_mov_b32 s0, 0
.LBB8_1297:
	s_andn2_b32 vcc_lo, exec_lo, s0
	s_cbranch_vccnz .LBB8_1299
; %bb.1298:
	global_load_sshort v2, v[4:5], off
	s_waitcnt vmcnt(0)
	v_cvt_f64_i32_e32 v[2:3], v2
.LBB8_1299:
	s_mov_b32 s0, 0
.LBB8_1300:
	s_andn2_b32 vcc_lo, exec_lo, s0
	s_cbranch_vccnz .LBB8_1306
; %bb.1301:
	s_cmp_gt_i32 s5, 0
	s_mov_b32 s0, 0
	s_cbranch_scc0 .LBB8_1303
; %bb.1302:
	global_load_sbyte v2, v[4:5], off
	s_waitcnt vmcnt(0)
	v_cvt_f64_i32_e32 v[2:3], v2
	s_branch .LBB8_1304
.LBB8_1303:
	s_mov_b32 s0, -1
                                        ; implicit-def: $vgpr2_vgpr3
.LBB8_1304:
	s_andn2_b32 vcc_lo, exec_lo, s0
	s_cbranch_vccnz .LBB8_1306
; %bb.1305:
	global_load_ubyte v2, v[4:5], off
	s_waitcnt vmcnt(0)
	v_cvt_f64_u32_e32 v[2:3], v2
.LBB8_1306:
.LBB8_1307:
	s_waitcnt vmcnt(0)
	v_cmp_ge_f64_e64 s0, 0x40200000, |v[2:3]|
                                        ; implicit-def: $vgpr4_vgpr5
	s_and_saveexec_b32 s12, s0
	s_xor_b32 s0, exec_lo, s12
	s_cbranch_execz .LBB8_1309
; %bb.1308:
	v_fma_f64 v[4:5], |v[2:3]|, 0.5, -2.0
	s_mov_b32 s12, 0x977da589
	s_mov_b32 s13, 0x3c833362
	;; [unrolled: 1-line block ×4, first 2 shown]
	v_fma_f64 v[7:8], v[4:5], s[14:15], s[12:13]
	s_mov_b32 s15, 0x3c545cb7
	s_mov_b32 s12, 0x721ebbb4
	;; [unrolled: 1-line block ×3, first 2 shown]
	v_fma_f64 v[11:12], v[4:5], v[7:8], s[14:15]
	s_mov_b32 s14, 0x3b39803f
	s_mov_b32 s15, 0xbc7abc9e
	v_add_f64 v[11:12], v[11:12], s[12:13]
	s_mov_b32 s12, 0x93f65eba
	s_mov_b32 s13, 0x3cdee6d8
	v_fma_f64 v[7:8], v[4:5], v[11:12], -v[7:8]
	v_add_f64 v[7:8], v[7:8], s[12:13]
	s_mov_b32 s12, 0xc297fbeb
	s_mov_b32 s13, 0xbd0a5022
	v_fma_f64 v[11:12], v[4:5], v[7:8], -v[11:12]
	;; [unrolled: 4-line block ×20, first 2 shown]
	v_add_f64 v[11:12], v[11:12], s[12:13]
	s_mov_b32 s12, 0x652b82fe
	s_mov_b32 s13, 0x3ff71547
	v_mul_f64 v[13:14], |v[2:3]|, s[12:13]
	s_mov_b32 s12, 0xf3dde3dd
	s_mov_b32 s13, 0x3f859961
	v_fma_f64 v[7:8], v[4:5], v[11:12], -v[7:8]
	v_rndne_f64_e32 v[13:14], v[13:14]
	v_add_f64 v[7:8], v[7:8], s[12:13]
	s_mov_b32 s12, 0xfefa39ef
	s_mov_b32 s13, 0xbfe62e42
	v_fma_f64 v[2:3], v[13:14], s[12:13], |v[2:3]|
	s_mov_b32 s12, 0xf121b6f0
	s_mov_b32 s13, 0xbf984e9e
	v_cvt_i32_f64_e32 v9, v[13:14]
	v_fma_f64 v[11:12], v[4:5], v[7:8], -v[11:12]
	v_fma_f64 v[2:3], v[13:14], s[14:15], v[2:3]
	s_mov_b32 s14, 0x6a5dcb37
	s_mov_b32 s15, 0x3e5ade15
	v_add_f64 v[11:12], v[11:12], s[12:13]
	s_mov_b32 s12, 0xfca7ab0c
	s_mov_b32 s13, 0x3e928af3
	v_fma_f64 v[15:16], v[2:3], s[14:15], s[12:13]
	s_mov_b32 s12, 0xcea8a32d
	s_mov_b32 s14, 0x623fde64
	;; [unrolled: 1-line block ×4, first 2 shown]
	v_fma_f64 v[7:8], v[4:5], v[11:12], -v[7:8]
	v_fma_f64 v[15:16], v[2:3], v[15:16], s[14:15]
	s_mov_b32 s14, 0x14761f6e
	s_mov_b32 s15, 0x3f2a01a0
	v_add_f64 v[7:8], v[7:8], s[12:13]
	s_mov_b32 s12, 0x7c89e6b0
	s_mov_b32 s13, 0x3efa0199
	v_fma_f64 v[15:16], v[2:3], v[15:16], s[12:13]
	s_mov_b32 s12, 0x342d06ea
	s_mov_b32 s13, 0xbfb84b70
	v_fma_f64 v[11:12], v[4:5], v[7:8], -v[11:12]
	v_fma_f64 v[15:16], v[2:3], v[15:16], s[14:15]
	s_mov_b32 s14, 0x11122322
	s_mov_b32 s15, 0x3f811111
	v_add_f64 v[11:12], v[11:12], s[12:13]
	s_mov_b32 s12, 0x1852b7b0
	s_mov_b32 s13, 0x3f56c16c
	v_fma_f64 v[15:16], v[2:3], v[15:16], s[12:13]
	s_mov_b32 s12, 0x77ac88c0
	s_mov_b32 s13, 0x3fc5f7ac
	;; [unrolled: 10-line block ×3, first 2 shown]
	v_fma_f64 v[11:12], v[4:5], v[7:8], -v[11:12]
	v_fma_f64 v[15:16], v[2:3], v[15:16], s[14:15]
	v_add_f64 v[11:12], v[11:12], s[12:13]
	s_mov_b32 s12, 11
	s_mov_b32 s13, 0x3fe00000
	v_fma_f64 v[15:16], v[2:3], v[15:16], s[12:13]
	s_mov_b32 s12, 0x9035a22a
	s_mov_b32 s13, 0x3fe5a84e
	v_fma_f64 v[4:5], v[4:5], v[11:12], -v[7:8]
	v_fma_f64 v[11:12], v[2:3], v[15:16], 1.0
	v_add_f64 v[4:5], v[4:5], s[12:13]
	v_fma_f64 v[2:3], v[2:3], v[11:12], 1.0
	v_add_f64 v[4:5], v[4:5], -v[7:8]
	v_ldexp_f64 v[2:3], v[2:3], v9
	v_mul_f64 v[4:5], v[4:5], 0.5
	v_mul_f64 v[4:5], v[2:3], v[4:5]
                                        ; implicit-def: $vgpr2_vgpr3
.LBB8_1309:
	s_andn2_saveexec_b32 s12, s0
	s_cbranch_execz .LBB8_1311
; %bb.1310:
	v_and_b32_e32 v5, 0x7fffffff, v3
	v_mov_b32_e32 v4, v2
	s_mov_b32 s14, 0x66119130
	s_mov_b32 s15, 0xbc5646da
	;; [unrolled: 1-line block ×4, first 2 shown]
	v_div_scale_f64 v[7:8], null, v[4:5], v[4:5], 0x40400000
	v_div_scale_f64 v[4:5], vcc_lo, 0x40400000, v[4:5], 0x40400000
	v_cmp_gt_f64_e64 s0, 0x10000000, |v[2:3]|
	v_rcp_f64_e32 v[11:12], v[7:8]
	v_cndmask_b32_e64 v9, 0, 0x100, s0
	v_ldexp_f64 v[19:20], |v[2:3]|, v9
	v_fma_f64 v[13:14], -v[7:8], v[11:12], 1.0
	v_rsq_f64_e32 v[21:22], v[19:20]
	v_fma_f64 v[11:12], v[11:12], v[13:14], v[11:12]
	v_mul_f64 v[23:24], v[19:20], v[21:22]
	v_mul_f64 v[21:22], v[21:22], 0.5
	v_fma_f64 v[13:14], -v[7:8], v[11:12], 1.0
	v_fma_f64 v[25:26], -v[21:22], v[23:24], 0.5
	v_fma_f64 v[11:12], v[11:12], v[13:14], v[11:12]
	v_fma_f64 v[23:24], v[23:24], v[25:26], v[23:24]
	;; [unrolled: 1-line block ×3, first 2 shown]
	v_mul_f64 v[13:14], v[4:5], v[11:12]
	v_fma_f64 v[25:26], -v[23:24], v[23:24], v[19:20]
	v_fma_f64 v[4:5], -v[7:8], v[13:14], v[4:5]
	v_div_fmas_f64 v[4:5], v[4:5], v[11:12], v[13:14]
	v_cmp_nlt_f64_e64 vcc_lo, 0x40900000, |v[2:3]|
	v_div_fixup_f64 v[4:5], v[4:5], |v[2:3]|, 0x40400000
	v_add_f64 v[4:5], v[4:5], -2.0
	v_fma_f64 v[7:8], v[4:5], s[16:17], s[14:15]
	s_mov_b32 s17, 0x3c60adb7
	s_mov_b32 s14, 0x12d98421
	s_mov_b32 s15, 0x3c89be18
	v_fma_f64 v[11:12], v[4:5], v[7:8], s[16:17]
	s_mov_b32 s16, 0x6a5dcb37
	s_mov_b32 s17, 0x3e5ade15
	v_add_f64 v[11:12], v[11:12], s[14:15]
	s_mov_b32 s14, 0x76041cd
	s_mov_b32 s15, 0x3c83f3dd
	v_fma_f64 v[7:8], v[4:5], v[11:12], -v[7:8]
	v_add_f64 v[7:8], v[7:8], s[14:15]
	s_mov_b32 s14, 0xabd21fe4
	s_mov_b32 s15, 0xbcb4600b
	v_fma_f64 v[11:12], v[4:5], v[7:8], -v[11:12]
	;; [unrolled: 4-line block ×15, first 2 shown]
	v_add_f64 v[7:8], v[7:8], s[14:15]
	s_mov_b32 s14, 0x652b82fe
	s_mov_b32 s15, 0x3ff71547
	v_mul_f64 v[13:14], |v[2:3]|, s[14:15]
	s_mov_b32 s14, 0xa9225b87
	s_mov_b32 s15, 0x3e2d2c64
	v_fma_f64 v[11:12], v[4:5], v[7:8], -v[11:12]
	v_rndne_f64_e32 v[13:14], v[13:14]
	v_add_f64 v[11:12], v[11:12], s[14:15]
	s_mov_b32 s14, 0xfefa39ef
	s_mov_b32 s15, 0xbfe62e42
	v_fma_f64 v[15:16], v[13:14], s[14:15], |v[2:3]|
	s_mov_b32 s14, 0x3b39803f
	s_mov_b32 s15, 0xbc7abc9e
	v_cvt_i32_f64_e32 v9, v[13:14]
	v_fma_f64 v[7:8], v[4:5], v[11:12], -v[7:8]
	v_fma_f64 v[15:16], v[13:14], s[14:15], v[15:16]
	s_mov_b32 s14, 0x80d6d56d
	s_mov_b32 s15, 0x3e585692
	v_add_f64 v[7:8], v[7:8], s[14:15]
	s_mov_b32 s14, 0xfca7ab0c
	s_mov_b32 s15, 0x3e928af3
	v_fma_f64 v[17:18], v[15:16], s[16:17], s[14:15]
	s_mov_b32 s14, 0x623fde64
	s_mov_b32 s15, 0x3ec71dee
	v_fma_f64 v[11:12], v[4:5], v[7:8], -v[11:12]
	v_fma_f64 v[17:18], v[15:16], v[17:18], s[14:15]
	s_mov_b32 s14, 0xd9cd616e
	s_mov_b32 s15, 0x3e8b8007
	v_add_f64 v[11:12], v[11:12], s[14:15]
	s_mov_b32 s14, 0x7c89e6b0
	s_mov_b32 s15, 0x3efa0199
	v_fma_f64 v[17:18], v[15:16], v[17:18], s[14:15]
	s_mov_b32 s14, 0x14761f6e
	s_mov_b32 s15, 0x3f2a01a0
	v_fma_f64 v[7:8], v[4:5], v[11:12], -v[7:8]
	v_fma_f64 v[17:18], v[15:16], v[17:18], s[14:15]
	s_mov_b32 s14, 0xc101c586
	s_mov_b32 s15, 0x3ec8412b
	v_add_f64 v[7:8], v[7:8], s[14:15]
	s_mov_b32 s14, 0x1852b7b0
	s_mov_b32 s15, 0x3f56c16c
	v_fma_f64 v[17:18], v[15:16], v[17:18], s[14:15]
	s_mov_b32 s14, 0x11122322
	s_mov_b32 s15, 0x3f811111
	v_fma_f64 v[11:12], v[4:5], v[7:8], -v[11:12]
	v_fma_f64 v[17:18], v[15:16], v[17:18], s[14:15]
	s_mov_b32 s14, 0x78999e52
	s_mov_b32 s15, 0x3f120fa3
	v_add_f64 v[11:12], v[11:12], s[14:15]
	s_mov_b32 s14, 0x555502a1
	s_mov_b32 s15, 0x3fa55555
	v_fma_f64 v[17:18], v[15:16], v[17:18], s[14:15]
	s_mov_b32 s14, 0x55555511
	s_mov_b32 s15, 0x3fc55555
	v_fma_f64 v[7:8], v[4:5], v[11:12], -v[7:8]
	v_fma_f64 v[17:18], v[15:16], v[17:18], s[14:15]
	s_mov_b32 s14, 0xa2e59049
	s_mov_b32 s15, 0x3f6b998c
	v_add_f64 v[7:8], v[7:8], s[14:15]
	s_mov_b32 s14, 11
	s_mov_b32 s15, 0x3fe00000
	v_fma_f64 v[17:18], v[15:16], v[17:18], s[14:15]
	s_mov_b32 s14, 0xaca809cb
	s_mov_b32 s15, 0x3fe9be62
	v_fma_f64 v[4:5], v[4:5], v[7:8], -v[11:12]
	v_fma_f64 v[7:8], v[25:26], v[21:22], v[23:24]
	v_fma_f64 v[17:18], v[15:16], v[17:18], 1.0
	v_add_f64 v[4:5], v[4:5], s[14:15]
	v_fma_f64 v[23:24], -v[7:8], v[7:8], v[19:20]
	v_fma_f64 v[13:14], v[15:16], v[17:18], 1.0
	v_add_f64 v[4:5], v[4:5], -v[11:12]
	v_fma_f64 v[7:8], v[23:24], v[21:22], v[7:8]
	v_ldexp_f64 v[11:12], v[13:14], v9
	v_mul_f64 v[2:3], v[4:5], 0.5
	v_cndmask_b32_e64 v4, 0, 0xffffff80, s0
	v_cmp_class_f64_e64 s0, v[19:20], 0x260
	v_ldexp_f64 v[4:5], v[7:8], v4
	v_cndmask_b32_e32 v8, 0x7ff00000, v12, vcc_lo
	v_cndmask_b32_e32 v7, 0, v11, vcc_lo
	v_mul_f64 v[2:3], v[7:8], v[2:3]
	v_cndmask_b32_e64 v5, v5, v20, s0
	v_cndmask_b32_e64 v4, v4, v19, s0
	v_div_scale_f64 v[7:8], null, v[4:5], v[4:5], v[2:3]
	v_rcp_f64_e32 v[11:12], v[7:8]
	v_fma_f64 v[13:14], -v[7:8], v[11:12], 1.0
	v_fma_f64 v[11:12], v[11:12], v[13:14], v[11:12]
	v_fma_f64 v[13:14], -v[7:8], v[11:12], 1.0
	v_fma_f64 v[11:12], v[11:12], v[13:14], v[11:12]
	v_div_scale_f64 v[13:14], vcc_lo, v[2:3], v[4:5], v[2:3]
	v_mul_f64 v[15:16], v[13:14], v[11:12]
	v_fma_f64 v[7:8], -v[7:8], v[15:16], v[13:14]
	v_div_fmas_f64 v[7:8], v[7:8], v[11:12], v[15:16]
	v_div_fixup_f64 v[4:5], v[7:8], v[4:5], v[2:3]
.LBB8_1311:
	s_or_b32 exec_lo, exec_lo, s12
	v_add_nc_u32_e32 v11, s3, v6
	s_cmp_lt_i32 s5, 11
	v_ashrrev_i32_e32 v2, 31, v11
	v_add_co_u32 v6, vcc_lo, s10, v11
	v_add_co_ci_u32_e64 v7, null, s11, v2, vcc_lo
	s_cbranch_scc1 .LBB8_1318
; %bb.1312:
	s_cmp_gt_i32 s5, 25
	s_mov_b32 s12, 0
	s_cbranch_scc0 .LBB8_1320
; %bb.1313:
	s_cmp_gt_i32 s5, 28
	s_cbranch_scc0 .LBB8_1321
; %bb.1314:
	s_cmp_gt_i32 s5, 43
	s_cbranch_scc0 .LBB8_1322
; %bb.1315:
	s_cmp_gt_i32 s5, 45
	s_cbranch_scc0 .LBB8_1324
; %bb.1316:
	s_cmp_eq_u32 s5, 46
	s_mov_b32 s14, 0
	s_cbranch_scc0 .LBB8_1325
; %bb.1317:
	global_load_dword v2, v[6:7], off
	s_mov_b32 s0, 0
	s_mov_b32 s13, -1
	s_waitcnt vmcnt(0)
	v_lshlrev_b32_e32 v2, 16, v2
	v_cvt_f64_f32_e32 v[2:3], v2
	s_branch .LBB8_1327
.LBB8_1318:
	s_mov_b32 s13, 0
                                        ; implicit-def: $vgpr2_vgpr3
	s_cbranch_execnz .LBB8_1393
.LBB8_1319:
	s_andn2_b32 vcc_lo, exec_lo, s13
	s_cbranch_vccnz .LBB8_1658
	s_branch .LBB8_1441
.LBB8_1320:
	s_mov_b32 s14, -1
	s_mov_b32 s13, 0
	s_mov_b32 s0, 0
                                        ; implicit-def: $vgpr2_vgpr3
	s_branch .LBB8_1358
.LBB8_1321:
	s_mov_b32 s14, -1
	s_mov_b32 s13, 0
	s_mov_b32 s0, 0
                                        ; implicit-def: $vgpr2_vgpr3
	s_branch .LBB8_1337
.LBB8_1322:
	s_mov_b32 s14, -1
	s_mov_b32 s13, 0
	s_mov_b32 s0, 0
                                        ; implicit-def: $vgpr2_vgpr3
	s_branch .LBB8_1332
.LBB8_1323:
	s_or_b32 s4, s4, exec_lo
	s_trap 2
	s_cbranch_execz .LBB8_1258
	s_branch .LBB8_1259
.LBB8_1324:
	s_mov_b32 s14, -1
	s_mov_b32 s13, 0
	s_mov_b32 s0, 0
	s_branch .LBB8_1326
.LBB8_1325:
	s_mov_b32 s0, -1
	s_mov_b32 s13, 0
.LBB8_1326:
                                        ; implicit-def: $vgpr2_vgpr3
.LBB8_1327:
	s_and_b32 vcc_lo, exec_lo, s14
	s_cbranch_vccz .LBB8_1331
; %bb.1328:
	s_cmp_eq_u32 s5, 44
	s_cbranch_scc0 .LBB8_1330
; %bb.1329:
	global_load_ubyte v8, v[6:7], off
	s_mov_b32 s0, 0
	s_mov_b32 s13, -1
	s_waitcnt vmcnt(0)
	v_lshlrev_b32_e32 v2, 23, v8
	v_cmp_ne_u32_e32 vcc_lo, 0xff, v8
	v_cvt_f64_f32_e32 v[2:3], v2
	v_cndmask_b32_e32 v2, 0x20000000, v2, vcc_lo
	v_cndmask_b32_e32 v3, 0x7ff80000, v3, vcc_lo
	v_cmp_ne_u32_e32 vcc_lo, 0, v8
	v_cndmask_b32_e32 v3, 0x38000000, v3, vcc_lo
	v_cndmask_b32_e32 v2, 0, v2, vcc_lo
	s_branch .LBB8_1331
.LBB8_1330:
	s_mov_b32 s0, -1
                                        ; implicit-def: $vgpr2_vgpr3
.LBB8_1331:
	s_mov_b32 s14, 0
.LBB8_1332:
	s_and_b32 vcc_lo, exec_lo, s14
	s_cbranch_vccz .LBB8_1336
; %bb.1333:
	s_cmp_eq_u32 s5, 29
	s_cbranch_scc0 .LBB8_1335
; %bb.1334:
	global_load_dwordx2 v[2:3], v[6:7], off
	s_mov_b32 s0, 0
	s_mov_b32 s13, -1
	s_mov_b32 s14, 0
	s_waitcnt vmcnt(0)
	v_cvt_f64_u32_e32 v[8:9], v3
	v_cvt_f64_u32_e32 v[2:3], v2
	v_ldexp_f64 v[8:9], v[8:9], 32
	v_add_f64 v[2:3], v[8:9], v[2:3]
	s_branch .LBB8_1337
.LBB8_1335:
	s_mov_b32 s0, -1
                                        ; implicit-def: $vgpr2_vgpr3
.LBB8_1336:
	s_mov_b32 s14, 0
.LBB8_1337:
	s_and_b32 vcc_lo, exec_lo, s14
	s_cbranch_vccz .LBB8_1357
; %bb.1338:
	s_cmp_lt_i32 s5, 27
	s_cbranch_scc1 .LBB8_1341
; %bb.1339:
	s_cmp_gt_i32 s5, 27
	s_cbranch_scc0 .LBB8_1342
; %bb.1340:
	global_load_dword v2, v[6:7], off
	s_mov_b32 s13, 0
	s_waitcnt vmcnt(0)
	v_cvt_f64_u32_e32 v[2:3], v2
	s_branch .LBB8_1343
.LBB8_1341:
	s_mov_b32 s13, -1
                                        ; implicit-def: $vgpr2_vgpr3
	s_branch .LBB8_1346
.LBB8_1342:
	s_mov_b32 s13, -1
                                        ; implicit-def: $vgpr2_vgpr3
.LBB8_1343:
	s_andn2_b32 vcc_lo, exec_lo, s13
	s_cbranch_vccnz .LBB8_1345
; %bb.1344:
	global_load_ushort v2, v[6:7], off
	s_waitcnt vmcnt(0)
	v_cvt_f64_u32_e32 v[2:3], v2
.LBB8_1345:
	s_mov_b32 s13, 0
.LBB8_1346:
	s_andn2_b32 vcc_lo, exec_lo, s13
	s_cbranch_vccnz .LBB8_1356
; %bb.1347:
	global_load_ubyte v8, v[6:7], off
	s_mov_b32 s13, 0
	s_mov_b32 s14, exec_lo
	s_waitcnt vmcnt(0)
	v_cmpx_lt_i16_e32 0x7f, v8
	s_xor_b32 s14, exec_lo, s14
	s_cbranch_execz .LBB8_1351
; %bb.1348:
	s_mov_b32 s13, -1
	s_mov_b32 s15, exec_lo
	v_cmpx_eq_u16_e32 0x80, v8
; %bb.1349:
	s_xor_b32 s13, exec_lo, -1
; %bb.1350:
	s_or_b32 exec_lo, exec_lo, s15
	s_and_b32 s13, s13, exec_lo
.LBB8_1351:
	s_or_saveexec_b32 s14, s14
	v_bfrev_b32_e32 v2, 4
	v_mov_b32_e32 v3, 0x7ff80000
	s_xor_b32 exec_lo, exec_lo, s14
; %bb.1352:
	v_cmp_ne_u16_e32 vcc_lo, 0, v8
	v_mov_b32_e32 v2, 0
	v_mov_b32_e32 v3, 0
	s_andn2_b32 s13, s13, exec_lo
	s_and_b32 s15, vcc_lo, exec_lo
	s_or_b32 s13, s13, s15
; %bb.1353:
	s_or_b32 exec_lo, exec_lo, s14
	s_and_saveexec_b32 s14, s13
	s_cbranch_execz .LBB8_1355
; %bb.1354:
	v_and_b32_e32 v2, 0xffff, v8
	v_lshlrev_b32_e32 v8, 24, v8
	v_and_b32_e32 v3, 7, v2
	v_bfe_u32 v13, v2, 3, 4
	v_ffbh_u32_e32 v9, v3
	v_cmp_eq_u32_e32 vcc_lo, 0, v13
	v_min_u32_e32 v9, 32, v9
	v_subrev_nc_u32_e32 v12, 28, v9
	v_sub_nc_u32_e32 v9, 29, v9
	v_lshlrev_b32_e32 v2, v12, v2
	v_cndmask_b32_e32 v9, v13, v9, vcc_lo
	v_and_b32_e32 v2, 7, v2
	v_cndmask_b32_e32 v2, v3, v2, vcc_lo
	v_and_b32_e32 v3, 0x80000000, v8
	v_lshl_add_u32 v8, v9, 23, 0x3b800000
	v_lshlrev_b32_e32 v2, 20, v2
	v_or3_b32 v2, v3, v8, v2
	v_cvt_f64_f32_e32 v[2:3], v2
.LBB8_1355:
	s_or_b32 exec_lo, exec_lo, s14
.LBB8_1356:
	s_mov_b32 s13, -1
.LBB8_1357:
	s_mov_b32 s14, 0
.LBB8_1358:
	s_and_b32 vcc_lo, exec_lo, s14
	s_cbranch_vccz .LBB8_1389
; %bb.1359:
	s_cmp_gt_i32 s5, 22
	s_cbranch_scc0 .LBB8_1371
; %bb.1360:
	s_cmp_lt_i32 s5, 24
	s_cbranch_scc1 .LBB8_1372
; %bb.1361:
	s_cmp_gt_i32 s5, 24
	s_cbranch_scc0 .LBB8_1373
; %bb.1362:
	global_load_ubyte v8, v[6:7], off
	s_mov_b32 s13, exec_lo
	s_waitcnt vmcnt(0)
	v_cmpx_lt_i16_e32 0x7f, v8
	s_xor_b32 s13, exec_lo, s13
	s_cbranch_execz .LBB8_1366
; %bb.1363:
	s_mov_b32 s12, -1
	s_mov_b32 s14, exec_lo
	v_cmpx_eq_u16_e32 0x80, v8
; %bb.1364:
	s_xor_b32 s12, exec_lo, -1
; %bb.1365:
	s_or_b32 exec_lo, exec_lo, s14
	s_and_b32 s12, s12, exec_lo
.LBB8_1366:
	s_or_saveexec_b32 s13, s13
	v_bfrev_b32_e32 v2, 4
	v_mov_b32_e32 v3, 0x7ff80000
	s_xor_b32 exec_lo, exec_lo, s13
; %bb.1367:
	v_cmp_ne_u16_e32 vcc_lo, 0, v8
	v_mov_b32_e32 v2, 0
	v_mov_b32_e32 v3, 0
	s_andn2_b32 s12, s12, exec_lo
	s_and_b32 s14, vcc_lo, exec_lo
	s_or_b32 s12, s12, s14
; %bb.1368:
	s_or_b32 exec_lo, exec_lo, s13
	s_and_saveexec_b32 s13, s12
	s_cbranch_execz .LBB8_1370
; %bb.1369:
	v_and_b32_e32 v2, 0xffff, v8
	v_lshlrev_b32_e32 v8, 24, v8
	v_and_b32_e32 v3, 3, v2
	v_bfe_u32 v13, v2, 2, 5
	v_ffbh_u32_e32 v9, v3
	v_cmp_eq_u32_e32 vcc_lo, 0, v13
	v_min_u32_e32 v9, 32, v9
	v_subrev_nc_u32_e32 v12, 29, v9
	v_sub_nc_u32_e32 v9, 30, v9
	v_lshlrev_b32_e32 v2, v12, v2
	v_cndmask_b32_e32 v9, v13, v9, vcc_lo
	v_and_b32_e32 v2, 3, v2
	v_cndmask_b32_e32 v2, v3, v2, vcc_lo
	v_and_b32_e32 v3, 0x80000000, v8
	v_lshl_add_u32 v8, v9, 23, 0x37800000
	v_lshlrev_b32_e32 v2, 21, v2
	v_or3_b32 v2, v3, v8, v2
	v_cvt_f64_f32_e32 v[2:3], v2
.LBB8_1370:
	s_or_b32 exec_lo, exec_lo, s13
	s_mov_b32 s12, 0
	s_branch .LBB8_1374
.LBB8_1371:
	s_mov_b32 s12, -1
                                        ; implicit-def: $vgpr2_vgpr3
	s_branch .LBB8_1380
.LBB8_1372:
	s_mov_b32 s12, -1
                                        ; implicit-def: $vgpr2_vgpr3
	s_branch .LBB8_1377
.LBB8_1373:
	s_mov_b32 s12, -1
                                        ; implicit-def: $vgpr2_vgpr3
.LBB8_1374:
	s_and_b32 vcc_lo, exec_lo, s12
	s_cbranch_vccz .LBB8_1376
; %bb.1375:
	global_load_ubyte v2, v[6:7], off
	s_waitcnt vmcnt(0)
	v_lshlrev_b32_e32 v2, 24, v2
	v_and_b32_e32 v3, 0x7f000000, v2
	v_ffbh_u32_e32 v8, v3
	v_add_nc_u32_e32 v12, 0x1000000, v3
	v_cmp_ne_u32_e32 vcc_lo, 0, v3
	v_min_u32_e32 v8, 32, v8
	v_sub_nc_u32_e64 v8, v8, 4 clamp
	v_lshlrev_b32_e32 v9, v8, v3
	v_lshlrev_b32_e32 v8, 23, v8
	v_lshrrev_b32_e32 v9, 4, v9
	v_sub_nc_u32_e32 v8, v9, v8
	v_ashrrev_i32_e32 v9, 8, v12
	v_add_nc_u32_e32 v8, 0x3c000000, v8
	v_and_or_b32 v8, 0x7f800000, v9, v8
	v_cndmask_b32_e32 v3, 0, v8, vcc_lo
	v_and_or_b32 v2, 0x80000000, v2, v3
	v_cvt_f64_f32_e32 v[2:3], v2
.LBB8_1376:
	s_mov_b32 s12, 0
.LBB8_1377:
	s_andn2_b32 vcc_lo, exec_lo, s12
	s_cbranch_vccnz .LBB8_1379
; %bb.1378:
	global_load_ubyte v2, v[6:7], off
	s_waitcnt vmcnt(0)
	v_lshlrev_b32_e32 v3, 25, v2
	v_lshlrev_b16 v2, 8, v2
	v_lshrrev_b32_e32 v8, 4, v3
	v_and_or_b32 v9, 0x7f00, v2, 0.5
	v_cmp_gt_u32_e32 vcc_lo, 0x8000000, v3
	v_bfe_i32 v2, v2, 0, 16
	v_or_b32_e32 v8, 0x70000000, v8
	v_add_f32_e32 v9, -0.5, v9
	v_mul_f32_e32 v8, 0x7800000, v8
	v_cndmask_b32_e32 v3, v8, v9, vcc_lo
	v_and_or_b32 v2, 0x80000000, v2, v3
	v_cvt_f64_f32_e32 v[2:3], v2
.LBB8_1379:
	s_mov_b32 s12, 0
	s_mov_b32 s13, -1
.LBB8_1380:
	s_andn2_b32 vcc_lo, exec_lo, s12
	s_mov_b32 s12, 0
	s_cbranch_vccnz .LBB8_1389
; %bb.1381:
	s_cmp_gt_i32 s5, 14
	s_cbranch_scc0 .LBB8_1384
; %bb.1382:
	s_cmp_eq_u32 s5, 15
	s_cbranch_scc0 .LBB8_1385
; %bb.1383:
	global_load_ushort v2, v[6:7], off
	s_mov_b32 s0, 0
	s_mov_b32 s13, -1
	s_waitcnt vmcnt(0)
	v_lshlrev_b32_e32 v2, 16, v2
	v_cvt_f64_f32_e32 v[2:3], v2
	s_branch .LBB8_1387
.LBB8_1384:
	s_mov_b32 s12, -1
	s_branch .LBB8_1386
.LBB8_1385:
	s_mov_b32 s0, -1
.LBB8_1386:
                                        ; implicit-def: $vgpr2_vgpr3
.LBB8_1387:
	s_and_b32 vcc_lo, exec_lo, s12
	s_mov_b32 s12, 0
	s_cbranch_vccz .LBB8_1389
; %bb.1388:
	s_cmp_lg_u32 s5, 11
	s_mov_b32 s12, -1
	s_cselect_b32 s0, -1, 0
.LBB8_1389:
	s_and_b32 vcc_lo, exec_lo, s0
	s_cbranch_vccnz .LBB8_1456
; %bb.1390:
	s_andn2_b32 vcc_lo, exec_lo, s12
	s_cbranch_vccnz .LBB8_1392
.LBB8_1391:
	global_load_ubyte v2, v[6:7], off
	s_mov_b32 s13, -1
	s_waitcnt vmcnt(0)
	v_cmp_ne_u16_e32 vcc_lo, 0, v2
	v_mov_b32_e32 v2, 0
	v_cndmask_b32_e64 v3, 0, 0x3ff00000, vcc_lo
.LBB8_1392:
	s_branch .LBB8_1319
.LBB8_1393:
	s_cmp_lt_i32 s5, 5
	s_cbranch_scc1 .LBB8_1398
; %bb.1394:
	s_cmp_lt_i32 s5, 8
	s_cbranch_scc1 .LBB8_1399
; %bb.1395:
	;; [unrolled: 3-line block ×3, first 2 shown]
	s_cmp_gt_i32 s5, 9
	s_cbranch_scc0 .LBB8_1401
; %bb.1397:
	global_load_dwordx2 v[2:3], v[6:7], off
	s_mov_b32 s0, 0
	s_branch .LBB8_1402
.LBB8_1398:
	s_mov_b32 s0, -1
                                        ; implicit-def: $vgpr2_vgpr3
	s_branch .LBB8_1420
.LBB8_1399:
	s_mov_b32 s0, -1
                                        ; implicit-def: $vgpr2_vgpr3
	s_branch .LBB8_1408
.LBB8_1400:
	s_mov_b32 s0, -1
                                        ; implicit-def: $vgpr2_vgpr3
	s_branch .LBB8_1405
.LBB8_1401:
	s_mov_b32 s0, -1
                                        ; implicit-def: $vgpr2_vgpr3
.LBB8_1402:
	s_andn2_b32 vcc_lo, exec_lo, s0
	s_cbranch_vccnz .LBB8_1404
; %bb.1403:
	global_load_dword v2, v[6:7], off
	s_waitcnt vmcnt(0)
	v_cvt_f64_f32_e32 v[2:3], v2
.LBB8_1404:
	s_mov_b32 s0, 0
.LBB8_1405:
	s_andn2_b32 vcc_lo, exec_lo, s0
	s_cbranch_vccnz .LBB8_1407
; %bb.1406:
	global_load_dword v2, v[6:7], off
	s_waitcnt vmcnt(0)
	v_cvt_f32_f16_e32 v2, v2
	v_cvt_f64_f32_e32 v[2:3], v2
.LBB8_1407:
	s_mov_b32 s0, 0
.LBB8_1408:
	s_andn2_b32 vcc_lo, exec_lo, s0
	s_cbranch_vccnz .LBB8_1419
; %bb.1409:
	s_cmp_lt_i32 s5, 6
	s_cbranch_scc1 .LBB8_1412
; %bb.1410:
	s_cmp_gt_i32 s5, 6
	s_cbranch_scc0 .LBB8_1413
; %bb.1411:
	global_load_dwordx2 v[2:3], v[6:7], off
	s_mov_b32 s0, 0
	s_branch .LBB8_1414
.LBB8_1412:
	s_mov_b32 s0, -1
                                        ; implicit-def: $vgpr2_vgpr3
	s_branch .LBB8_1417
.LBB8_1413:
	s_mov_b32 s0, -1
                                        ; implicit-def: $vgpr2_vgpr3
.LBB8_1414:
	s_andn2_b32 vcc_lo, exec_lo, s0
	s_cbranch_vccnz .LBB8_1416
; %bb.1415:
	global_load_dword v2, v[6:7], off
	s_waitcnt vmcnt(0)
	v_cvt_f64_f32_e32 v[2:3], v2
.LBB8_1416:
	s_mov_b32 s0, 0
.LBB8_1417:
	s_andn2_b32 vcc_lo, exec_lo, s0
	s_cbranch_vccnz .LBB8_1419
; %bb.1418:
	global_load_ushort v2, v[6:7], off
	s_waitcnt vmcnt(0)
	v_cvt_f32_f16_e32 v2, v2
	v_cvt_f64_f32_e32 v[2:3], v2
.LBB8_1419:
	s_mov_b32 s0, 0
.LBB8_1420:
	s_andn2_b32 vcc_lo, exec_lo, s0
	s_cbranch_vccnz .LBB8_1440
; %bb.1421:
	s_cmp_lt_i32 s5, 2
	s_cbranch_scc1 .LBB8_1425
; %bb.1422:
	s_cmp_lt_i32 s5, 3
	s_cbranch_scc1 .LBB8_1426
; %bb.1423:
	s_cmp_gt_i32 s5, 3
	s_cbranch_scc0 .LBB8_1427
; %bb.1424:
	global_load_dwordx2 v[2:3], v[6:7], off
	s_mov_b32 s0, 0
	s_waitcnt vmcnt(0)
	v_cvt_f64_i32_e32 v[8:9], v3
	v_cvt_f64_u32_e32 v[2:3], v2
	v_ldexp_f64 v[8:9], v[8:9], 32
	v_add_f64 v[2:3], v[8:9], v[2:3]
	s_branch .LBB8_1428
.LBB8_1425:
	s_mov_b32 s0, -1
                                        ; implicit-def: $vgpr2_vgpr3
	s_branch .LBB8_1434
.LBB8_1426:
	s_mov_b32 s0, -1
                                        ; implicit-def: $vgpr2_vgpr3
	s_branch .LBB8_1431
.LBB8_1427:
	s_mov_b32 s0, -1
                                        ; implicit-def: $vgpr2_vgpr3
.LBB8_1428:
	s_andn2_b32 vcc_lo, exec_lo, s0
	s_cbranch_vccnz .LBB8_1430
; %bb.1429:
	global_load_dword v2, v[6:7], off
	s_waitcnt vmcnt(0)
	v_cvt_f64_i32_e32 v[2:3], v2
.LBB8_1430:
	s_mov_b32 s0, 0
.LBB8_1431:
	s_andn2_b32 vcc_lo, exec_lo, s0
	s_cbranch_vccnz .LBB8_1433
; %bb.1432:
	global_load_sshort v2, v[6:7], off
	s_waitcnt vmcnt(0)
	v_cvt_f64_i32_e32 v[2:3], v2
.LBB8_1433:
	s_mov_b32 s0, 0
.LBB8_1434:
	s_andn2_b32 vcc_lo, exec_lo, s0
	s_cbranch_vccnz .LBB8_1440
; %bb.1435:
	s_cmp_gt_i32 s5, 0
	s_mov_b32 s0, 0
	s_cbranch_scc0 .LBB8_1437
; %bb.1436:
	global_load_sbyte v2, v[6:7], off
	s_waitcnt vmcnt(0)
	v_cvt_f64_i32_e32 v[2:3], v2
	s_branch .LBB8_1438
.LBB8_1437:
	s_mov_b32 s0, -1
                                        ; implicit-def: $vgpr2_vgpr3
.LBB8_1438:
	s_andn2_b32 vcc_lo, exec_lo, s0
	s_cbranch_vccnz .LBB8_1440
; %bb.1439:
	global_load_ubyte v2, v[6:7], off
	s_waitcnt vmcnt(0)
	v_cvt_f64_u32_e32 v[2:3], v2
.LBB8_1440:
.LBB8_1441:
	s_waitcnt vmcnt(0)
	v_cmp_ge_f64_e64 s0, 0x40200000, |v[2:3]|
                                        ; implicit-def: $vgpr8_vgpr9
	s_and_saveexec_b32 s12, s0
	s_xor_b32 s0, exec_lo, s12
	s_cbranch_execz .LBB8_1443
; %bb.1442:
	v_fma_f64 v[6:7], |v[2:3]|, 0.5, -2.0
	s_mov_b32 s12, 0x977da589
	s_mov_b32 s13, 0x3c833362
	;; [unrolled: 1-line block ×4, first 2 shown]
	v_fma_f64 v[8:9], v[6:7], s[14:15], s[12:13]
	s_mov_b32 s15, 0x3c545cb7
	s_mov_b32 s12, 0x721ebbb4
	;; [unrolled: 1-line block ×3, first 2 shown]
	v_fma_f64 v[12:13], v[6:7], v[8:9], s[14:15]
	s_mov_b32 s14, 0x3b39803f
	s_mov_b32 s15, 0xbc7abc9e
	v_add_f64 v[12:13], v[12:13], s[12:13]
	s_mov_b32 s12, 0x93f65eba
	s_mov_b32 s13, 0x3cdee6d8
	v_fma_f64 v[8:9], v[6:7], v[12:13], -v[8:9]
	v_add_f64 v[8:9], v[8:9], s[12:13]
	s_mov_b32 s12, 0xc297fbeb
	s_mov_b32 s13, 0xbd0a5022
	v_fma_f64 v[12:13], v[6:7], v[8:9], -v[12:13]
	;; [unrolled: 4-line block ×20, first 2 shown]
	v_add_f64 v[12:13], v[12:13], s[12:13]
	s_mov_b32 s12, 0x652b82fe
	s_mov_b32 s13, 0x3ff71547
	v_mul_f64 v[14:15], |v[2:3]|, s[12:13]
	s_mov_b32 s12, 0xf3dde3dd
	s_mov_b32 s13, 0x3f859961
	v_fma_f64 v[8:9], v[6:7], v[12:13], -v[8:9]
	v_rndne_f64_e32 v[14:15], v[14:15]
	v_add_f64 v[8:9], v[8:9], s[12:13]
	s_mov_b32 s12, 0xfefa39ef
	s_mov_b32 s13, 0xbfe62e42
	v_fma_f64 v[2:3], v[14:15], s[12:13], |v[2:3]|
	s_mov_b32 s12, 0xf121b6f0
	s_mov_b32 s13, 0xbf984e9e
	v_fma_f64 v[12:13], v[6:7], v[8:9], -v[12:13]
	v_fma_f64 v[2:3], v[14:15], s[14:15], v[2:3]
	s_mov_b32 s14, 0x6a5dcb37
	s_mov_b32 s15, 0x3e5ade15
	v_add_f64 v[12:13], v[12:13], s[12:13]
	s_mov_b32 s12, 0xfca7ab0c
	s_mov_b32 s13, 0x3e928af3
	v_fma_f64 v[16:17], v[2:3], s[14:15], s[12:13]
	s_mov_b32 s12, 0xcea8a32d
	s_mov_b32 s14, 0x623fde64
	;; [unrolled: 1-line block ×4, first 2 shown]
	v_fma_f64 v[8:9], v[6:7], v[12:13], -v[8:9]
	v_fma_f64 v[16:17], v[2:3], v[16:17], s[14:15]
	s_mov_b32 s14, 0x14761f6e
	s_mov_b32 s15, 0x3f2a01a0
	v_add_f64 v[8:9], v[8:9], s[12:13]
	s_mov_b32 s12, 0x7c89e6b0
	s_mov_b32 s13, 0x3efa0199
	v_fma_f64 v[16:17], v[2:3], v[16:17], s[12:13]
	s_mov_b32 s12, 0x342d06ea
	s_mov_b32 s13, 0xbfb84b70
	v_fma_f64 v[12:13], v[6:7], v[8:9], -v[12:13]
	v_fma_f64 v[16:17], v[2:3], v[16:17], s[14:15]
	s_mov_b32 s14, 0x11122322
	s_mov_b32 s15, 0x3f811111
	v_add_f64 v[12:13], v[12:13], s[12:13]
	s_mov_b32 s12, 0x1852b7b0
	s_mov_b32 s13, 0x3f56c16c
	v_fma_f64 v[16:17], v[2:3], v[16:17], s[12:13]
	s_mov_b32 s12, 0x77ac88c0
	s_mov_b32 s13, 0x3fc5f7ac
	;; [unrolled: 10-line block ×3, first 2 shown]
	v_fma_f64 v[12:13], v[6:7], v[8:9], -v[12:13]
	v_fma_f64 v[16:17], v[2:3], v[16:17], s[14:15]
	v_add_f64 v[12:13], v[12:13], s[12:13]
	s_mov_b32 s12, 11
	s_mov_b32 s13, 0x3fe00000
	v_fma_f64 v[16:17], v[2:3], v[16:17], s[12:13]
	s_mov_b32 s12, 0x9035a22a
	s_mov_b32 s13, 0x3fe5a84e
	v_fma_f64 v[6:7], v[6:7], v[12:13], -v[8:9]
	v_fma_f64 v[12:13], v[2:3], v[16:17], 1.0
	v_add_f64 v[6:7], v[6:7], s[12:13]
	v_fma_f64 v[2:3], v[2:3], v[12:13], 1.0
	v_cvt_i32_f64_e32 v12, v[14:15]
	v_add_f64 v[6:7], v[6:7], -v[8:9]
	v_ldexp_f64 v[2:3], v[2:3], v12
	v_mul_f64 v[6:7], v[6:7], 0.5
	v_mul_f64 v[8:9], v[2:3], v[6:7]
                                        ; implicit-def: $vgpr2_vgpr3
.LBB8_1443:
	s_andn2_saveexec_b32 s12, s0
	s_cbranch_execz .LBB8_1445
; %bb.1444:
	v_and_b32_e32 v7, 0x7fffffff, v3
	v_mov_b32_e32 v6, v2
	s_mov_b32 s14, 0x66119130
	s_mov_b32 s15, 0xbc5646da
	;; [unrolled: 1-line block ×4, first 2 shown]
	v_div_scale_f64 v[8:9], null, v[6:7], v[6:7], 0x40400000
	v_div_scale_f64 v[6:7], vcc_lo, 0x40400000, v[6:7], 0x40400000
	v_cmp_gt_f64_e64 s0, 0x10000000, |v[2:3]|
	v_rcp_f64_e32 v[12:13], v[8:9]
	v_cndmask_b32_e64 v20, 0, 0x100, s0
	v_ldexp_f64 v[20:21], |v[2:3]|, v20
	v_fma_f64 v[14:15], -v[8:9], v[12:13], 1.0
	v_rsq_f64_e32 v[22:23], v[20:21]
	v_fma_f64 v[12:13], v[12:13], v[14:15], v[12:13]
	v_mul_f64 v[24:25], v[20:21], v[22:23]
	v_mul_f64 v[22:23], v[22:23], 0.5
	v_fma_f64 v[14:15], -v[8:9], v[12:13], 1.0
	v_fma_f64 v[26:27], -v[22:23], v[24:25], 0.5
	v_fma_f64 v[12:13], v[12:13], v[14:15], v[12:13]
	v_fma_f64 v[24:25], v[24:25], v[26:27], v[24:25]
	;; [unrolled: 1-line block ×3, first 2 shown]
	v_mul_f64 v[14:15], v[6:7], v[12:13]
	v_fma_f64 v[26:27], -v[24:25], v[24:25], v[20:21]
	v_fma_f64 v[6:7], -v[8:9], v[14:15], v[6:7]
	v_div_fmas_f64 v[6:7], v[6:7], v[12:13], v[14:15]
	v_cmp_nlt_f64_e64 vcc_lo, 0x40900000, |v[2:3]|
	v_div_fixup_f64 v[6:7], v[6:7], |v[2:3]|, 0x40400000
	v_add_f64 v[6:7], v[6:7], -2.0
	v_fma_f64 v[8:9], v[6:7], s[16:17], s[14:15]
	s_mov_b32 s17, 0x3c60adb7
	s_mov_b32 s14, 0x12d98421
	;; [unrolled: 1-line block ×3, first 2 shown]
	v_fma_f64 v[12:13], v[6:7], v[8:9], s[16:17]
	s_mov_b32 s16, 0x6a5dcb37
	s_mov_b32 s17, 0x3e5ade15
	v_add_f64 v[12:13], v[12:13], s[14:15]
	s_mov_b32 s14, 0x76041cd
	s_mov_b32 s15, 0x3c83f3dd
	v_fma_f64 v[8:9], v[6:7], v[12:13], -v[8:9]
	v_add_f64 v[8:9], v[8:9], s[14:15]
	s_mov_b32 s14, 0xabd21fe4
	s_mov_b32 s15, 0xbcb4600b
	v_fma_f64 v[12:13], v[6:7], v[8:9], -v[12:13]
	;; [unrolled: 4-line block ×15, first 2 shown]
	v_add_f64 v[8:9], v[8:9], s[14:15]
	s_mov_b32 s14, 0x652b82fe
	s_mov_b32 s15, 0x3ff71547
	v_mul_f64 v[14:15], |v[2:3]|, s[14:15]
	s_mov_b32 s14, 0xa9225b87
	s_mov_b32 s15, 0x3e2d2c64
	v_fma_f64 v[12:13], v[6:7], v[8:9], -v[12:13]
	v_rndne_f64_e32 v[14:15], v[14:15]
	v_add_f64 v[12:13], v[12:13], s[14:15]
	s_mov_b32 s14, 0xfefa39ef
	s_mov_b32 s15, 0xbfe62e42
	v_fma_f64 v[16:17], v[14:15], s[14:15], |v[2:3]|
	s_mov_b32 s14, 0x3b39803f
	s_mov_b32 s15, 0xbc7abc9e
	v_fma_f64 v[8:9], v[6:7], v[12:13], -v[8:9]
	v_fma_f64 v[16:17], v[14:15], s[14:15], v[16:17]
	s_mov_b32 s14, 0x80d6d56d
	s_mov_b32 s15, 0x3e585692
	v_add_f64 v[8:9], v[8:9], s[14:15]
	s_mov_b32 s14, 0xfca7ab0c
	s_mov_b32 s15, 0x3e928af3
	v_fma_f64 v[18:19], v[16:17], s[16:17], s[14:15]
	s_mov_b32 s14, 0x623fde64
	s_mov_b32 s15, 0x3ec71dee
	v_fma_f64 v[12:13], v[6:7], v[8:9], -v[12:13]
	v_fma_f64 v[18:19], v[16:17], v[18:19], s[14:15]
	s_mov_b32 s14, 0xd9cd616e
	s_mov_b32 s15, 0x3e8b8007
	v_add_f64 v[12:13], v[12:13], s[14:15]
	s_mov_b32 s14, 0x7c89e6b0
	s_mov_b32 s15, 0x3efa0199
	v_fma_f64 v[18:19], v[16:17], v[18:19], s[14:15]
	;; [unrolled: 10-line block ×5, first 2 shown]
	s_mov_b32 s14, 0xaca809cb
	s_mov_b32 s15, 0x3fe9be62
	v_fma_f64 v[6:7], v[6:7], v[8:9], -v[12:13]
	v_fma_f64 v[8:9], v[26:27], v[22:23], v[24:25]
	v_cvt_i32_f64_e32 v26, v[14:15]
	v_fma_f64 v[18:19], v[16:17], v[18:19], 1.0
	v_add_f64 v[6:7], v[6:7], s[14:15]
	v_fma_f64 v[24:25], -v[8:9], v[8:9], v[20:21]
	v_fma_f64 v[14:15], v[16:17], v[18:19], 1.0
	v_add_f64 v[6:7], v[6:7], -v[12:13]
	v_fma_f64 v[8:9], v[24:25], v[22:23], v[8:9]
	v_ldexp_f64 v[12:13], v[14:15], v26
	v_mul_f64 v[2:3], v[6:7], 0.5
	v_cndmask_b32_e64 v6, 0, 0xffffff80, s0
	v_cmp_class_f64_e64 s0, v[20:21], 0x260
	v_ldexp_f64 v[6:7], v[8:9], v6
	v_cndmask_b32_e32 v9, 0x7ff00000, v13, vcc_lo
	v_cndmask_b32_e32 v8, 0, v12, vcc_lo
	v_mul_f64 v[2:3], v[8:9], v[2:3]
	v_cndmask_b32_e64 v7, v7, v21, s0
	v_cndmask_b32_e64 v6, v6, v20, s0
	v_div_scale_f64 v[8:9], null, v[6:7], v[6:7], v[2:3]
	v_rcp_f64_e32 v[12:13], v[8:9]
	v_fma_f64 v[14:15], -v[8:9], v[12:13], 1.0
	v_fma_f64 v[12:13], v[12:13], v[14:15], v[12:13]
	v_fma_f64 v[14:15], -v[8:9], v[12:13], 1.0
	v_fma_f64 v[12:13], v[12:13], v[14:15], v[12:13]
	v_div_scale_f64 v[14:15], vcc_lo, v[2:3], v[6:7], v[2:3]
	v_mul_f64 v[16:17], v[14:15], v[12:13]
	v_fma_f64 v[8:9], -v[8:9], v[16:17], v[14:15]
	v_div_fmas_f64 v[8:9], v[8:9], v[12:13], v[16:17]
	v_div_fixup_f64 v[8:9], v[8:9], v[6:7], v[2:3]
.LBB8_1445:
	s_or_b32 exec_lo, exec_lo, s12
	v_add_nc_u32_e32 v2, s3, v11
	s_cmp_lt_i32 s5, 11
	v_ashrrev_i32_e32 v3, 31, v2
	v_add_co_u32 v6, vcc_lo, s10, v2
	v_add_co_ci_u32_e64 v7, null, s11, v3, vcc_lo
	s_cbranch_scc1 .LBB8_1452
; %bb.1446:
	s_cmp_gt_i32 s5, 25
	s_mov_b32 s3, 0
	s_cbranch_scc0 .LBB8_1453
; %bb.1447:
	s_cmp_gt_i32 s5, 28
	s_cbranch_scc0 .LBB8_1454
; %bb.1448:
	s_cmp_gt_i32 s5, 43
	;; [unrolled: 3-line block ×3, first 2 shown]
	s_cbranch_scc0 .LBB8_1457
; %bb.1450:
	s_cmp_eq_u32 s5, 46
	s_mov_b32 s11, 0
	s_cbranch_scc0 .LBB8_1458
; %bb.1451:
	global_load_dword v2, v[6:7], off
	s_mov_b32 s0, 0
	s_mov_b32 s10, -1
	s_waitcnt vmcnt(0)
	v_lshlrev_b32_e32 v2, 16, v2
	v_cvt_f64_f32_e32 v[2:3], v2
	s_branch .LBB8_1460
.LBB8_1452:
	s_mov_b32 s0, -1
	s_mov_b32 s10, 0
                                        ; implicit-def: $vgpr2_vgpr3
	s_branch .LBB8_1526
.LBB8_1453:
	s_mov_b32 s11, -1
	s_mov_b32 s10, 0
	s_mov_b32 s0, 0
                                        ; implicit-def: $vgpr2_vgpr3
	s_branch .LBB8_1491
.LBB8_1454:
	s_mov_b32 s11, -1
	s_mov_b32 s10, 0
	s_mov_b32 s0, 0
                                        ; implicit-def: $vgpr2_vgpr3
	s_branch .LBB8_1470
.LBB8_1455:
	s_mov_b32 s11, -1
	s_mov_b32 s10, 0
	s_mov_b32 s0, 0
                                        ; implicit-def: $vgpr2_vgpr3
	s_branch .LBB8_1465
.LBB8_1456:
	s_or_b32 s4, s4, exec_lo
	s_trap 2
	s_cbranch_execz .LBB8_1391
	s_branch .LBB8_1392
.LBB8_1457:
	s_mov_b32 s11, -1
	s_mov_b32 s10, 0
	s_mov_b32 s0, 0
	s_branch .LBB8_1459
.LBB8_1458:
	s_mov_b32 s0, -1
	s_mov_b32 s10, 0
.LBB8_1459:
                                        ; implicit-def: $vgpr2_vgpr3
.LBB8_1460:
	s_and_b32 vcc_lo, exec_lo, s11
	s_cbranch_vccz .LBB8_1464
; %bb.1461:
	s_cmp_eq_u32 s5, 44
	s_cbranch_scc0 .LBB8_1463
; %bb.1462:
	global_load_ubyte v11, v[6:7], off
	s_mov_b32 s0, 0
	s_mov_b32 s10, -1
	s_waitcnt vmcnt(0)
	v_lshlrev_b32_e32 v2, 23, v11
	v_cmp_ne_u32_e32 vcc_lo, 0xff, v11
	v_cvt_f64_f32_e32 v[2:3], v2
	v_cndmask_b32_e32 v2, 0x20000000, v2, vcc_lo
	v_cndmask_b32_e32 v3, 0x7ff80000, v3, vcc_lo
	v_cmp_ne_u32_e32 vcc_lo, 0, v11
	v_cndmask_b32_e32 v3, 0x38000000, v3, vcc_lo
	v_cndmask_b32_e32 v2, 0, v2, vcc_lo
	s_branch .LBB8_1464
.LBB8_1463:
	s_mov_b32 s0, -1
                                        ; implicit-def: $vgpr2_vgpr3
.LBB8_1464:
	s_mov_b32 s11, 0
.LBB8_1465:
	s_and_b32 vcc_lo, exec_lo, s11
	s_cbranch_vccz .LBB8_1469
; %bb.1466:
	s_cmp_eq_u32 s5, 29
	s_cbranch_scc0 .LBB8_1468
; %bb.1467:
	global_load_dwordx2 v[2:3], v[6:7], off
	s_mov_b32 s0, 0
	s_mov_b32 s10, -1
	s_mov_b32 s11, 0
	s_waitcnt vmcnt(0)
	v_cvt_f64_u32_e32 v[11:12], v3
	v_cvt_f64_u32_e32 v[2:3], v2
	v_ldexp_f64 v[11:12], v[11:12], 32
	v_add_f64 v[2:3], v[11:12], v[2:3]
	s_branch .LBB8_1470
.LBB8_1468:
	s_mov_b32 s0, -1
                                        ; implicit-def: $vgpr2_vgpr3
.LBB8_1469:
	s_mov_b32 s11, 0
.LBB8_1470:
	s_and_b32 vcc_lo, exec_lo, s11
	s_cbranch_vccz .LBB8_1490
; %bb.1471:
	s_cmp_lt_i32 s5, 27
	s_cbranch_scc1 .LBB8_1474
; %bb.1472:
	s_cmp_gt_i32 s5, 27
	s_cbranch_scc0 .LBB8_1475
; %bb.1473:
	global_load_dword v2, v[6:7], off
	s_mov_b32 s10, 0
	s_waitcnt vmcnt(0)
	v_cvt_f64_u32_e32 v[2:3], v2
	s_branch .LBB8_1476
.LBB8_1474:
	s_mov_b32 s10, -1
                                        ; implicit-def: $vgpr2_vgpr3
	s_branch .LBB8_1479
.LBB8_1475:
	s_mov_b32 s10, -1
                                        ; implicit-def: $vgpr2_vgpr3
.LBB8_1476:
	s_andn2_b32 vcc_lo, exec_lo, s10
	s_cbranch_vccnz .LBB8_1478
; %bb.1477:
	global_load_ushort v2, v[6:7], off
	s_waitcnt vmcnt(0)
	v_cvt_f64_u32_e32 v[2:3], v2
.LBB8_1478:
	s_mov_b32 s10, 0
.LBB8_1479:
	s_andn2_b32 vcc_lo, exec_lo, s10
	s_cbranch_vccnz .LBB8_1489
; %bb.1480:
	global_load_ubyte v11, v[6:7], off
	s_mov_b32 s10, 0
	s_mov_b32 s11, exec_lo
	s_waitcnt vmcnt(0)
	v_cmpx_lt_i16_e32 0x7f, v11
	s_xor_b32 s11, exec_lo, s11
	s_cbranch_execz .LBB8_1484
; %bb.1481:
	s_mov_b32 s10, -1
	s_mov_b32 s12, exec_lo
	v_cmpx_eq_u16_e32 0x80, v11
; %bb.1482:
	s_xor_b32 s10, exec_lo, -1
; %bb.1483:
	s_or_b32 exec_lo, exec_lo, s12
	s_and_b32 s10, s10, exec_lo
.LBB8_1484:
	s_or_saveexec_b32 s11, s11
	v_bfrev_b32_e32 v2, 4
	v_mov_b32_e32 v3, 0x7ff80000
	s_xor_b32 exec_lo, exec_lo, s11
; %bb.1485:
	v_cmp_ne_u16_e32 vcc_lo, 0, v11
	v_mov_b32_e32 v2, 0
	v_mov_b32_e32 v3, 0
	s_andn2_b32 s10, s10, exec_lo
	s_and_b32 s12, vcc_lo, exec_lo
	s_or_b32 s10, s10, s12
; %bb.1486:
	s_or_b32 exec_lo, exec_lo, s11
	s_and_saveexec_b32 s11, s10
	s_cbranch_execz .LBB8_1488
; %bb.1487:
	v_and_b32_e32 v2, 0xffff, v11
	v_lshlrev_b32_e32 v11, 24, v11
	v_and_b32_e32 v3, 7, v2
	v_bfe_u32 v14, v2, 3, 4
	v_ffbh_u32_e32 v12, v3
	v_cmp_eq_u32_e32 vcc_lo, 0, v14
	v_min_u32_e32 v12, 32, v12
	v_subrev_nc_u32_e32 v13, 28, v12
	v_sub_nc_u32_e32 v12, 29, v12
	v_lshlrev_b32_e32 v2, v13, v2
	v_cndmask_b32_e32 v12, v14, v12, vcc_lo
	v_and_b32_e32 v2, 7, v2
	v_cndmask_b32_e32 v2, v3, v2, vcc_lo
	v_and_b32_e32 v3, 0x80000000, v11
	v_lshl_add_u32 v11, v12, 23, 0x3b800000
	v_lshlrev_b32_e32 v2, 20, v2
	v_or3_b32 v2, v3, v11, v2
	v_cvt_f64_f32_e32 v[2:3], v2
.LBB8_1488:
	s_or_b32 exec_lo, exec_lo, s11
.LBB8_1489:
	s_mov_b32 s10, -1
.LBB8_1490:
	s_mov_b32 s11, 0
.LBB8_1491:
	s_and_b32 vcc_lo, exec_lo, s11
	s_cbranch_vccz .LBB8_1522
; %bb.1492:
	s_cmp_gt_i32 s5, 22
	s_cbranch_scc0 .LBB8_1504
; %bb.1493:
	s_cmp_lt_i32 s5, 24
	s_cbranch_scc1 .LBB8_1505
; %bb.1494:
	s_cmp_gt_i32 s5, 24
	s_cbranch_scc0 .LBB8_1506
; %bb.1495:
	global_load_ubyte v11, v[6:7], off
	s_mov_b32 s10, exec_lo
	s_waitcnt vmcnt(0)
	v_cmpx_lt_i16_e32 0x7f, v11
	s_xor_b32 s10, exec_lo, s10
	s_cbranch_execz .LBB8_1499
; %bb.1496:
	s_mov_b32 s3, -1
	s_mov_b32 s11, exec_lo
	v_cmpx_eq_u16_e32 0x80, v11
; %bb.1497:
	s_xor_b32 s3, exec_lo, -1
; %bb.1498:
	s_or_b32 exec_lo, exec_lo, s11
	s_and_b32 s3, s3, exec_lo
.LBB8_1499:
	s_or_saveexec_b32 s10, s10
	v_bfrev_b32_e32 v2, 4
	v_mov_b32_e32 v3, 0x7ff80000
	s_xor_b32 exec_lo, exec_lo, s10
; %bb.1500:
	v_cmp_ne_u16_e32 vcc_lo, 0, v11
	v_mov_b32_e32 v2, 0
	v_mov_b32_e32 v3, 0
	s_andn2_b32 s3, s3, exec_lo
	s_and_b32 s11, vcc_lo, exec_lo
	s_or_b32 s3, s3, s11
; %bb.1501:
	s_or_b32 exec_lo, exec_lo, s10
	s_and_saveexec_b32 s10, s3
	s_cbranch_execz .LBB8_1503
; %bb.1502:
	v_and_b32_e32 v2, 0xffff, v11
	v_lshlrev_b32_e32 v11, 24, v11
	v_and_b32_e32 v3, 3, v2
	v_bfe_u32 v14, v2, 2, 5
	v_ffbh_u32_e32 v12, v3
	v_cmp_eq_u32_e32 vcc_lo, 0, v14
	v_min_u32_e32 v12, 32, v12
	v_subrev_nc_u32_e32 v13, 29, v12
	v_sub_nc_u32_e32 v12, 30, v12
	v_lshlrev_b32_e32 v2, v13, v2
	v_cndmask_b32_e32 v12, v14, v12, vcc_lo
	v_and_b32_e32 v2, 3, v2
	v_cndmask_b32_e32 v2, v3, v2, vcc_lo
	v_and_b32_e32 v3, 0x80000000, v11
	v_lshl_add_u32 v11, v12, 23, 0x37800000
	v_lshlrev_b32_e32 v2, 21, v2
	v_or3_b32 v2, v3, v11, v2
	v_cvt_f64_f32_e32 v[2:3], v2
.LBB8_1503:
	s_or_b32 exec_lo, exec_lo, s10
	s_mov_b32 s3, 0
	s_branch .LBB8_1507
.LBB8_1504:
	s_mov_b32 s3, -1
                                        ; implicit-def: $vgpr2_vgpr3
	s_branch .LBB8_1513
.LBB8_1505:
	s_mov_b32 s3, -1
                                        ; implicit-def: $vgpr2_vgpr3
	s_branch .LBB8_1510
.LBB8_1506:
	s_mov_b32 s3, -1
                                        ; implicit-def: $vgpr2_vgpr3
.LBB8_1507:
	s_and_b32 vcc_lo, exec_lo, s3
	s_cbranch_vccz .LBB8_1509
; %bb.1508:
	global_load_ubyte v2, v[6:7], off
	s_waitcnt vmcnt(0)
	v_lshlrev_b32_e32 v2, 24, v2
	v_and_b32_e32 v3, 0x7f000000, v2
	v_ffbh_u32_e32 v11, v3
	v_add_nc_u32_e32 v13, 0x1000000, v3
	v_cmp_ne_u32_e32 vcc_lo, 0, v3
	v_min_u32_e32 v11, 32, v11
	v_sub_nc_u32_e64 v11, v11, 4 clamp
	v_lshlrev_b32_e32 v12, v11, v3
	v_lshlrev_b32_e32 v11, 23, v11
	v_lshrrev_b32_e32 v12, 4, v12
	v_sub_nc_u32_e32 v11, v12, v11
	v_ashrrev_i32_e32 v12, 8, v13
	v_add_nc_u32_e32 v11, 0x3c000000, v11
	v_and_or_b32 v11, 0x7f800000, v12, v11
	v_cndmask_b32_e32 v3, 0, v11, vcc_lo
	v_and_or_b32 v2, 0x80000000, v2, v3
	v_cvt_f64_f32_e32 v[2:3], v2
.LBB8_1509:
	s_mov_b32 s3, 0
.LBB8_1510:
	s_andn2_b32 vcc_lo, exec_lo, s3
	s_cbranch_vccnz .LBB8_1512
; %bb.1511:
	global_load_ubyte v2, v[6:7], off
	s_waitcnt vmcnt(0)
	v_lshlrev_b32_e32 v3, 25, v2
	v_lshlrev_b16 v2, 8, v2
	v_lshrrev_b32_e32 v11, 4, v3
	v_and_or_b32 v12, 0x7f00, v2, 0.5
	v_cmp_gt_u32_e32 vcc_lo, 0x8000000, v3
	v_bfe_i32 v2, v2, 0, 16
	v_or_b32_e32 v11, 0x70000000, v11
	v_add_f32_e32 v12, -0.5, v12
	v_mul_f32_e32 v11, 0x7800000, v11
	v_cndmask_b32_e32 v3, v11, v12, vcc_lo
	v_and_or_b32 v2, 0x80000000, v2, v3
	v_cvt_f64_f32_e32 v[2:3], v2
.LBB8_1512:
	s_mov_b32 s3, 0
	s_mov_b32 s10, -1
.LBB8_1513:
	s_andn2_b32 vcc_lo, exec_lo, s3
	s_mov_b32 s3, 0
	s_cbranch_vccnz .LBB8_1522
; %bb.1514:
	s_cmp_gt_i32 s5, 14
	s_cbranch_scc0 .LBB8_1517
; %bb.1515:
	s_cmp_eq_u32 s5, 15
	s_cbranch_scc0 .LBB8_1518
; %bb.1516:
	global_load_ushort v2, v[6:7], off
	s_mov_b32 s0, 0
	s_mov_b32 s10, -1
	s_waitcnt vmcnt(0)
	v_lshlrev_b32_e32 v2, 16, v2
	v_cvt_f64_f32_e32 v[2:3], v2
	s_branch .LBB8_1520
.LBB8_1517:
	s_mov_b32 s3, -1
	s_branch .LBB8_1519
.LBB8_1518:
	s_mov_b32 s0, -1
.LBB8_1519:
                                        ; implicit-def: $vgpr2_vgpr3
.LBB8_1520:
	s_and_b32 vcc_lo, exec_lo, s3
	s_mov_b32 s3, 0
	s_cbranch_vccz .LBB8_1522
; %bb.1521:
	s_cmp_lg_u32 s5, 11
	s_mov_b32 s3, -1
	s_cselect_b32 s0, -1, 0
.LBB8_1522:
	s_and_b32 vcc_lo, exec_lo, s0
	s_cbranch_vccnz .LBB8_2060
; %bb.1523:
	s_andn2_b32 vcc_lo, exec_lo, s3
	s_cbranch_vccnz .LBB8_1525
.LBB8_1524:
	global_load_ubyte v2, v[6:7], off
	s_mov_b32 s10, -1
	s_waitcnt vmcnt(0)
	v_cmp_ne_u16_e32 vcc_lo, 0, v2
	v_mov_b32_e32 v2, 0
	v_cndmask_b32_e64 v3, 0, 0x3ff00000, vcc_lo
.LBB8_1525:
	s_mov_b32 s0, 0
.LBB8_1526:
	s_and_b32 vcc_lo, exec_lo, s0
	s_cbranch_vccz .LBB8_1575
; %bb.1527:
	s_cmp_lt_i32 s5, 5
	s_cbranch_scc1 .LBB8_1532
; %bb.1528:
	s_cmp_lt_i32 s5, 8
	s_cbranch_scc1 .LBB8_1533
	;; [unrolled: 3-line block ×3, first 2 shown]
; %bb.1530:
	s_cmp_gt_i32 s5, 9
	s_cbranch_scc0 .LBB8_1535
; %bb.1531:
	global_load_dwordx2 v[2:3], v[6:7], off
	s_mov_b32 s0, 0
	s_branch .LBB8_1536
.LBB8_1532:
	s_mov_b32 s0, -1
                                        ; implicit-def: $vgpr2_vgpr3
	s_branch .LBB8_1554
.LBB8_1533:
	s_mov_b32 s0, -1
                                        ; implicit-def: $vgpr2_vgpr3
	s_branch .LBB8_1542
.LBB8_1534:
	s_mov_b32 s0, -1
                                        ; implicit-def: $vgpr2_vgpr3
	s_branch .LBB8_1539
.LBB8_1535:
	s_mov_b32 s0, -1
                                        ; implicit-def: $vgpr2_vgpr3
.LBB8_1536:
	s_andn2_b32 vcc_lo, exec_lo, s0
	s_cbranch_vccnz .LBB8_1538
; %bb.1537:
	global_load_dword v2, v[6:7], off
	s_waitcnt vmcnt(0)
	v_cvt_f64_f32_e32 v[2:3], v2
.LBB8_1538:
	s_mov_b32 s0, 0
.LBB8_1539:
	s_andn2_b32 vcc_lo, exec_lo, s0
	s_cbranch_vccnz .LBB8_1541
; %bb.1540:
	global_load_dword v2, v[6:7], off
	s_waitcnt vmcnt(0)
	v_cvt_f32_f16_e32 v2, v2
	v_cvt_f64_f32_e32 v[2:3], v2
.LBB8_1541:
	s_mov_b32 s0, 0
.LBB8_1542:
	s_andn2_b32 vcc_lo, exec_lo, s0
	s_cbranch_vccnz .LBB8_1553
; %bb.1543:
	s_cmp_lt_i32 s5, 6
	s_cbranch_scc1 .LBB8_1546
; %bb.1544:
	s_cmp_gt_i32 s5, 6
	s_cbranch_scc0 .LBB8_1547
; %bb.1545:
	global_load_dwordx2 v[2:3], v[6:7], off
	s_mov_b32 s0, 0
	s_branch .LBB8_1548
.LBB8_1546:
	s_mov_b32 s0, -1
                                        ; implicit-def: $vgpr2_vgpr3
	s_branch .LBB8_1551
.LBB8_1547:
	s_mov_b32 s0, -1
                                        ; implicit-def: $vgpr2_vgpr3
.LBB8_1548:
	s_andn2_b32 vcc_lo, exec_lo, s0
	s_cbranch_vccnz .LBB8_1550
; %bb.1549:
	global_load_dword v2, v[6:7], off
	s_waitcnt vmcnt(0)
	v_cvt_f64_f32_e32 v[2:3], v2
.LBB8_1550:
	s_mov_b32 s0, 0
.LBB8_1551:
	s_andn2_b32 vcc_lo, exec_lo, s0
	s_cbranch_vccnz .LBB8_1553
; %bb.1552:
	global_load_ushort v2, v[6:7], off
	s_waitcnt vmcnt(0)
	v_cvt_f32_f16_e32 v2, v2
	v_cvt_f64_f32_e32 v[2:3], v2
.LBB8_1553:
	s_mov_b32 s0, 0
.LBB8_1554:
	s_andn2_b32 vcc_lo, exec_lo, s0
	s_cbranch_vccnz .LBB8_1574
; %bb.1555:
	s_cmp_lt_i32 s5, 2
	s_cbranch_scc1 .LBB8_1559
; %bb.1556:
	s_cmp_lt_i32 s5, 3
	s_cbranch_scc1 .LBB8_1560
; %bb.1557:
	s_cmp_gt_i32 s5, 3
	s_cbranch_scc0 .LBB8_1561
; %bb.1558:
	global_load_dwordx2 v[2:3], v[6:7], off
	s_mov_b32 s0, 0
	s_waitcnt vmcnt(0)
	v_cvt_f64_i32_e32 v[11:12], v3
	v_cvt_f64_u32_e32 v[2:3], v2
	v_ldexp_f64 v[11:12], v[11:12], 32
	v_add_f64 v[2:3], v[11:12], v[2:3]
	s_branch .LBB8_1562
.LBB8_1559:
	s_mov_b32 s0, -1
                                        ; implicit-def: $vgpr2_vgpr3
	s_branch .LBB8_1568
.LBB8_1560:
	s_mov_b32 s0, -1
                                        ; implicit-def: $vgpr2_vgpr3
	s_branch .LBB8_1565
.LBB8_1561:
	s_mov_b32 s0, -1
                                        ; implicit-def: $vgpr2_vgpr3
.LBB8_1562:
	s_andn2_b32 vcc_lo, exec_lo, s0
	s_cbranch_vccnz .LBB8_1564
; %bb.1563:
	global_load_dword v2, v[6:7], off
	s_waitcnt vmcnt(0)
	v_cvt_f64_i32_e32 v[2:3], v2
.LBB8_1564:
	s_mov_b32 s0, 0
.LBB8_1565:
	s_andn2_b32 vcc_lo, exec_lo, s0
	s_cbranch_vccnz .LBB8_1567
; %bb.1566:
	global_load_sshort v2, v[6:7], off
	s_waitcnt vmcnt(0)
	v_cvt_f64_i32_e32 v[2:3], v2
.LBB8_1567:
	s_mov_b32 s0, 0
.LBB8_1568:
	s_andn2_b32 vcc_lo, exec_lo, s0
	s_cbranch_vccnz .LBB8_1574
; %bb.1569:
	s_cmp_gt_i32 s5, 0
	s_mov_b32 s0, 0
	s_cbranch_scc0 .LBB8_1571
; %bb.1570:
	global_load_sbyte v2, v[6:7], off
	s_waitcnt vmcnt(0)
	v_cvt_f64_i32_e32 v[2:3], v2
	s_branch .LBB8_1572
.LBB8_1571:
	s_mov_b32 s0, -1
                                        ; implicit-def: $vgpr2_vgpr3
.LBB8_1572:
	s_andn2_b32 vcc_lo, exec_lo, s0
	s_cbranch_vccnz .LBB8_1574
; %bb.1573:
	global_load_ubyte v2, v[6:7], off
	s_waitcnt vmcnt(0)
	v_cvt_f64_u32_e32 v[2:3], v2
.LBB8_1574:
	s_mov_b32 s10, -1
.LBB8_1575:
	s_andn2_b32 vcc_lo, exec_lo, s10
	s_cbranch_vccnz .LBB8_1658
; %bb.1576:
	s_waitcnt vmcnt(0)
	v_cmp_ge_f64_e64 s0, 0x40200000, |v[2:3]|
                                        ; implicit-def: $vgpr12_vgpr13
	s_and_saveexec_b32 s3, s0
	s_xor_b32 s0, exec_lo, s3
	s_cbranch_execz .LBB8_1578
; %bb.1577:
	v_fma_f64 v[6:7], |v[2:3]|, 0.5, -2.0
	s_mov_b32 s10, 0x977da589
	s_mov_b32 s11, 0x3c833362
	;; [unrolled: 1-line block ×4, first 2 shown]
	v_fma_f64 v[11:12], v[6:7], s[12:13], s[10:11]
	s_mov_b32 s13, 0x3c545cb7
	s_mov_b32 s10, 0x721ebbb4
	;; [unrolled: 1-line block ×3, first 2 shown]
	v_fma_f64 v[13:14], v[6:7], v[11:12], s[12:13]
	s_mov_b32 s12, 0x3b39803f
	s_mov_b32 s13, 0xbc7abc9e
	v_add_f64 v[13:14], v[13:14], s[10:11]
	s_mov_b32 s10, 0x93f65eba
	s_mov_b32 s11, 0x3cdee6d8
	v_fma_f64 v[11:12], v[6:7], v[13:14], -v[11:12]
	v_add_f64 v[11:12], v[11:12], s[10:11]
	s_mov_b32 s10, 0xc297fbeb
	s_mov_b32 s11, 0xbd0a5022
	v_fma_f64 v[13:14], v[6:7], v[11:12], -v[13:14]
	;; [unrolled: 4-line block ×20, first 2 shown]
	v_add_f64 v[13:14], v[13:14], s[10:11]
	s_mov_b32 s10, 0x652b82fe
	s_mov_b32 s11, 0x3ff71547
	v_mul_f64 v[15:16], |v[2:3]|, s[10:11]
	s_mov_b32 s10, 0xf3dde3dd
	s_mov_b32 s11, 0x3f859961
	v_fma_f64 v[11:12], v[6:7], v[13:14], -v[11:12]
	v_rndne_f64_e32 v[15:16], v[15:16]
	v_add_f64 v[11:12], v[11:12], s[10:11]
	s_mov_b32 s10, 0xfefa39ef
	s_mov_b32 s11, 0xbfe62e42
	v_fma_f64 v[2:3], v[15:16], s[10:11], |v[2:3]|
	s_mov_b32 s10, 0xf121b6f0
	s_mov_b32 s11, 0xbf984e9e
	v_fma_f64 v[13:14], v[6:7], v[11:12], -v[13:14]
	v_fma_f64 v[2:3], v[15:16], s[12:13], v[2:3]
	s_mov_b32 s12, 0x6a5dcb37
	s_mov_b32 s13, 0x3e5ade15
	v_add_f64 v[13:14], v[13:14], s[10:11]
	s_mov_b32 s10, 0xfca7ab0c
	s_mov_b32 s11, 0x3e928af3
	v_fma_f64 v[17:18], v[2:3], s[12:13], s[10:11]
	s_mov_b32 s10, 0xcea8a32d
	s_mov_b32 s12, 0x623fde64
	;; [unrolled: 1-line block ×4, first 2 shown]
	v_fma_f64 v[11:12], v[6:7], v[13:14], -v[11:12]
	v_fma_f64 v[17:18], v[2:3], v[17:18], s[12:13]
	s_mov_b32 s12, 0x14761f6e
	s_mov_b32 s13, 0x3f2a01a0
	v_add_f64 v[11:12], v[11:12], s[10:11]
	s_mov_b32 s10, 0x7c89e6b0
	s_mov_b32 s11, 0x3efa0199
	v_fma_f64 v[17:18], v[2:3], v[17:18], s[10:11]
	s_mov_b32 s10, 0x342d06ea
	s_mov_b32 s11, 0xbfb84b70
	v_fma_f64 v[13:14], v[6:7], v[11:12], -v[13:14]
	v_fma_f64 v[17:18], v[2:3], v[17:18], s[12:13]
	s_mov_b32 s12, 0x11122322
	s_mov_b32 s13, 0x3f811111
	v_add_f64 v[13:14], v[13:14], s[10:11]
	s_mov_b32 s10, 0x1852b7b0
	s_mov_b32 s11, 0x3f56c16c
	v_fma_f64 v[17:18], v[2:3], v[17:18], s[10:11]
	s_mov_b32 s10, 0x77ac88c0
	s_mov_b32 s11, 0x3fc5f7ac
	;; [unrolled: 10-line block ×3, first 2 shown]
	v_fma_f64 v[13:14], v[6:7], v[11:12], -v[13:14]
	v_fma_f64 v[17:18], v[2:3], v[17:18], s[12:13]
	v_add_f64 v[13:14], v[13:14], s[10:11]
	s_mov_b32 s10, 11
	s_mov_b32 s11, 0x3fe00000
	v_fma_f64 v[17:18], v[2:3], v[17:18], s[10:11]
	s_mov_b32 s10, 0x9035a22a
	s_mov_b32 s11, 0x3fe5a84e
	v_fma_f64 v[6:7], v[6:7], v[13:14], -v[11:12]
	v_fma_f64 v[13:14], v[2:3], v[17:18], 1.0
	v_add_f64 v[6:7], v[6:7], s[10:11]
	v_fma_f64 v[2:3], v[2:3], v[13:14], 1.0
	v_cvt_i32_f64_e32 v13, v[15:16]
	v_add_f64 v[6:7], v[6:7], -v[11:12]
	v_ldexp_f64 v[2:3], v[2:3], v13
	v_mul_f64 v[6:7], v[6:7], 0.5
	v_mul_f64 v[12:13], v[2:3], v[6:7]
                                        ; implicit-def: $vgpr2_vgpr3
.LBB8_1578:
	s_andn2_saveexec_b32 s3, s0
	s_cbranch_execz .LBB8_1580
; %bb.1579:
	v_and_b32_e32 v7, 0x7fffffff, v3
	v_mov_b32_e32 v6, v2
	s_mov_b32 s10, 0x66119130
	s_mov_b32 s11, 0xbc5646da
	;; [unrolled: 1-line block ×4, first 2 shown]
	v_div_scale_f64 v[11:12], null, v[6:7], v[6:7], 0x40400000
	v_div_scale_f64 v[6:7], vcc_lo, 0x40400000, v[6:7], 0x40400000
	v_cmp_gt_f64_e64 s0, 0x10000000, |v[2:3]|
	v_rcp_f64_e32 v[13:14], v[11:12]
	v_cndmask_b32_e64 v21, 0, 0x100, s0
	v_ldexp_f64 v[21:22], |v[2:3]|, v21
	v_fma_f64 v[15:16], -v[11:12], v[13:14], 1.0
	v_rsq_f64_e32 v[23:24], v[21:22]
	v_fma_f64 v[13:14], v[13:14], v[15:16], v[13:14]
	v_mul_f64 v[25:26], v[21:22], v[23:24]
	v_mul_f64 v[23:24], v[23:24], 0.5
	v_fma_f64 v[15:16], -v[11:12], v[13:14], 1.0
	v_fma_f64 v[27:28], -v[23:24], v[25:26], 0.5
	v_fma_f64 v[13:14], v[13:14], v[15:16], v[13:14]
	v_fma_f64 v[25:26], v[25:26], v[27:28], v[25:26]
	;; [unrolled: 1-line block ×3, first 2 shown]
	v_mul_f64 v[15:16], v[6:7], v[13:14]
	v_fma_f64 v[27:28], -v[25:26], v[25:26], v[21:22]
	v_fma_f64 v[6:7], -v[11:12], v[15:16], v[6:7]
	v_div_fmas_f64 v[6:7], v[6:7], v[13:14], v[15:16]
	v_cmp_nlt_f64_e64 vcc_lo, 0x40900000, |v[2:3]|
	v_div_fixup_f64 v[6:7], v[6:7], |v[2:3]|, 0x40400000
	v_add_f64 v[6:7], v[6:7], -2.0
	v_fma_f64 v[11:12], v[6:7], s[12:13], s[10:11]
	s_mov_b32 s13, 0x3c60adb7
	s_mov_b32 s10, 0x12d98421
	;; [unrolled: 1-line block ×3, first 2 shown]
	v_fma_f64 v[13:14], v[6:7], v[11:12], s[12:13]
	s_mov_b32 s12, 0x6a5dcb37
	s_mov_b32 s13, 0x3e5ade15
	v_add_f64 v[13:14], v[13:14], s[10:11]
	s_mov_b32 s10, 0x76041cd
	s_mov_b32 s11, 0x3c83f3dd
	v_fma_f64 v[11:12], v[6:7], v[13:14], -v[11:12]
	v_add_f64 v[11:12], v[11:12], s[10:11]
	s_mov_b32 s10, 0xabd21fe4
	s_mov_b32 s11, 0xbcb4600b
	v_fma_f64 v[13:14], v[6:7], v[11:12], -v[13:14]
	;; [unrolled: 4-line block ×15, first 2 shown]
	v_add_f64 v[11:12], v[11:12], s[10:11]
	s_mov_b32 s10, 0x652b82fe
	s_mov_b32 s11, 0x3ff71547
	v_mul_f64 v[15:16], |v[2:3]|, s[10:11]
	s_mov_b32 s10, 0xa9225b87
	s_mov_b32 s11, 0x3e2d2c64
	v_fma_f64 v[13:14], v[6:7], v[11:12], -v[13:14]
	v_rndne_f64_e32 v[15:16], v[15:16]
	v_add_f64 v[13:14], v[13:14], s[10:11]
	s_mov_b32 s10, 0xfefa39ef
	s_mov_b32 s11, 0xbfe62e42
	v_fma_f64 v[17:18], v[15:16], s[10:11], |v[2:3]|
	s_mov_b32 s10, 0x3b39803f
	s_mov_b32 s11, 0xbc7abc9e
	v_fma_f64 v[11:12], v[6:7], v[13:14], -v[11:12]
	v_fma_f64 v[17:18], v[15:16], s[10:11], v[17:18]
	s_mov_b32 s10, 0x80d6d56d
	s_mov_b32 s11, 0x3e585692
	v_add_f64 v[11:12], v[11:12], s[10:11]
	s_mov_b32 s10, 0xfca7ab0c
	s_mov_b32 s11, 0x3e928af3
	v_fma_f64 v[19:20], v[17:18], s[12:13], s[10:11]
	s_mov_b32 s10, 0x623fde64
	s_mov_b32 s11, 0x3ec71dee
	v_fma_f64 v[13:14], v[6:7], v[11:12], -v[13:14]
	v_fma_f64 v[19:20], v[17:18], v[19:20], s[10:11]
	s_mov_b32 s10, 0xd9cd616e
	s_mov_b32 s11, 0x3e8b8007
	v_add_f64 v[13:14], v[13:14], s[10:11]
	s_mov_b32 s10, 0x7c89e6b0
	s_mov_b32 s11, 0x3efa0199
	v_fma_f64 v[19:20], v[17:18], v[19:20], s[10:11]
	;; [unrolled: 10-line block ×5, first 2 shown]
	s_mov_b32 s10, 0xaca809cb
	s_mov_b32 s11, 0x3fe9be62
	v_fma_f64 v[6:7], v[6:7], v[11:12], -v[13:14]
	v_fma_f64 v[11:12], v[27:28], v[23:24], v[25:26]
	v_cvt_i32_f64_e32 v27, v[15:16]
	v_fma_f64 v[19:20], v[17:18], v[19:20], 1.0
	v_add_f64 v[6:7], v[6:7], s[10:11]
	v_fma_f64 v[25:26], -v[11:12], v[11:12], v[21:22]
	v_fma_f64 v[15:16], v[17:18], v[19:20], 1.0
	v_add_f64 v[6:7], v[6:7], -v[13:14]
	v_fma_f64 v[11:12], v[25:26], v[23:24], v[11:12]
	v_ldexp_f64 v[13:14], v[15:16], v27
	v_mul_f64 v[2:3], v[6:7], 0.5
	v_cndmask_b32_e64 v6, 0, 0xffffff80, s0
	v_cmp_class_f64_e64 s0, v[21:22], 0x260
	v_ldexp_f64 v[6:7], v[11:12], v6
	v_cndmask_b32_e32 v12, 0x7ff00000, v14, vcc_lo
	v_cndmask_b32_e32 v11, 0, v13, vcc_lo
	v_mul_f64 v[2:3], v[11:12], v[2:3]
	v_cndmask_b32_e64 v7, v7, v22, s0
	v_cndmask_b32_e64 v6, v6, v21, s0
	v_div_scale_f64 v[11:12], null, v[6:7], v[6:7], v[2:3]
	v_rcp_f64_e32 v[13:14], v[11:12]
	v_fma_f64 v[15:16], -v[11:12], v[13:14], 1.0
	v_fma_f64 v[13:14], v[13:14], v[15:16], v[13:14]
	v_fma_f64 v[15:16], -v[11:12], v[13:14], 1.0
	v_fma_f64 v[13:14], v[13:14], v[15:16], v[13:14]
	v_div_scale_f64 v[15:16], vcc_lo, v[2:3], v[6:7], v[2:3]
	v_mul_f64 v[17:18], v[15:16], v[13:14]
	v_fma_f64 v[11:12], -v[11:12], v[17:18], v[15:16]
	v_div_fmas_f64 v[11:12], v[11:12], v[13:14], v[17:18]
	v_div_fixup_f64 v[12:13], v[11:12], v[6:7], v[2:3]
.LBB8_1580:
	s_or_b32 exec_lo, exec_lo, s3
	v_mul_lo_u32 v10, s2, v10
	s_and_b32 s12, s1, 0xff
	s_cmp_lt_i32 s12, 11
	v_ashrrev_i32_e32 v2, 31, v10
	v_add_co_u32 v6, vcc_lo, s8, v10
	v_add_co_ci_u32_e64 v7, null, s9, v2, vcc_lo
	s_cbranch_scc1 .LBB8_1703
; %bb.1581:
	s_and_b32 s1, 0xffff, s12
	s_mov_b32 s10, -1
	s_mov_b32 s3, 0
	s_cmp_gt_i32 s1, 25
	s_mov_b32 s5, 0
	s_mov_b32 s0, 0
	s_cbranch_scc0 .LBB8_1614
; %bb.1582:
	s_cmp_gt_i32 s1, 28
	s_cbranch_scc0 .LBB8_1597
; %bb.1583:
	s_cmp_gt_i32 s1, 43
	;; [unrolled: 3-line block ×3, first 2 shown]
	s_cbranch_scc0 .LBB8_1587
; %bb.1585:
	s_mov_b32 s0, -1
	s_mov_b32 s10, 0
	s_cmp_eq_u32 s1, 46
	s_cbranch_scc0 .LBB8_1587
; %bb.1586:
	v_cvt_f32_f64_e32 v2, v[0:1]
	s_mov_b32 s0, 0
	s_mov_b32 s5, -1
	v_bfe_u32 v3, v2, 16, 1
	v_cmp_o_f32_e32 vcc_lo, v2, v2
	v_add3_u32 v2, v2, v3, 0x7fff
	v_mov_b32_e32 v3, 0x7fc0
	v_cndmask_b32_sdwa v2, v3, v2, vcc_lo dst_sel:DWORD dst_unused:UNUSED_PAD src0_sel:DWORD src1_sel:WORD_1
	global_store_dword v[6:7], v2, off
.LBB8_1587:
	s_and_b32 vcc_lo, exec_lo, s10
	s_cbranch_vccz .LBB8_1592
; %bb.1588:
	s_cmp_eq_u32 s1, 44
	s_mov_b32 s0, -1
	s_cbranch_scc0 .LBB8_1592
; %bb.1589:
	v_cvt_f32_f64_e32 v2, v[0:1]
	v_mov_b32_e32 v3, 0xff
	s_mov_b32 s5, exec_lo
	v_bfe_u32 v11, v2, 23, 8
	v_cmpx_ne_u32_e32 0xff, v11
	s_cbranch_execz .LBB8_1591
; %bb.1590:
	v_and_b32_e32 v3, 0x400000, v2
	v_and_or_b32 v11, 0x3fffff, v2, v11
	v_lshrrev_b32_e32 v2, 23, v2
	v_cmp_ne_u32_e32 vcc_lo, 0, v3
	v_cmp_ne_u32_e64 s0, 0, v11
	s_and_b32 s0, vcc_lo, s0
	v_cndmask_b32_e64 v3, 0, 1, s0
	v_add_nc_u32_e32 v3, v2, v3
.LBB8_1591:
	s_or_b32 exec_lo, exec_lo, s5
	s_mov_b32 s0, 0
	s_mov_b32 s5, -1
	global_store_byte v[6:7], v3, off
.LBB8_1592:
	s_mov_b32 s10, 0
.LBB8_1593:
	s_and_b32 vcc_lo, exec_lo, s10
	s_cbranch_vccz .LBB8_1596
; %bb.1594:
	s_cmp_eq_u32 s1, 29
	s_mov_b32 s0, -1
	s_cbranch_scc0 .LBB8_1596
; %bb.1595:
	v_trunc_f64_e32 v[2:3], v[0:1]
	s_mov_b32 s0, 0
	s_mov_b32 s5, -1
	v_ldexp_f64 v[14:15], v[2:3], 0xffffffe0
	v_floor_f64_e32 v[14:15], v[14:15]
	v_fma_f64 v[2:3], 0xc1f00000, v[14:15], v[2:3]
	v_cvt_u32_f64_e32 v15, v[14:15]
	v_cvt_u32_f64_e32 v14, v[2:3]
	global_store_dwordx2 v[6:7], v[14:15], off
.LBB8_1596:
	s_mov_b32 s10, 0
.LBB8_1597:
	s_and_b32 vcc_lo, exec_lo, s10
	s_cbranch_vccz .LBB8_1613
; %bb.1598:
	s_cmp_lt_i32 s1, 27
	s_mov_b32 s5, -1
	s_cbranch_scc1 .LBB8_1604
; %bb.1599:
	v_cvt_u32_f64_e32 v2, v[0:1]
	s_cmp_gt_i32 s1, 27
	s_cbranch_scc0 .LBB8_1601
; %bb.1600:
	s_mov_b32 s5, 0
	global_store_dword v[6:7], v2, off
.LBB8_1601:
	s_andn2_b32 vcc_lo, exec_lo, s5
	s_cbranch_vccnz .LBB8_1603
; %bb.1602:
	global_store_short v[6:7], v2, off
.LBB8_1603:
	s_mov_b32 s5, 0
.LBB8_1604:
	s_andn2_b32 vcc_lo, exec_lo, s5
	s_cbranch_vccnz .LBB8_1612
; %bb.1605:
	v_cvt_f32_f64_e32 v2, v[0:1]
	v_mov_b32_e32 v11, 0x80
	s_mov_b32 s5, exec_lo
	v_and_b32_e32 v3, 0x7fffffff, v2
	v_cmpx_gt_u32_e32 0x43800000, v3
	s_cbranch_execz .LBB8_1611
; %bb.1606:
	v_cmp_lt_u32_e32 vcc_lo, 0x3bffffff, v3
	s_mov_b32 s10, 0
                                        ; implicit-def: $vgpr3
	s_and_saveexec_b32 s11, vcc_lo
	s_xor_b32 s11, exec_lo, s11
	s_cbranch_execz .LBB8_2061
; %bb.1607:
	v_bfe_u32 v3, v2, 20, 1
	s_mov_b32 s10, exec_lo
	v_add3_u32 v3, v2, v3, 0x487ffff
	v_lshrrev_b32_e32 v3, 20, v3
	s_andn2_saveexec_b32 s11, s11
	s_cbranch_execnz .LBB8_2062
.LBB8_1608:
	s_or_b32 exec_lo, exec_lo, s11
	v_mov_b32_e32 v11, 0
	s_and_saveexec_b32 s11, s10
.LBB8_1609:
	v_lshrrev_b32_e32 v2, 24, v2
	v_and_or_b32 v11, 0x80, v2, v3
.LBB8_1610:
	s_or_b32 exec_lo, exec_lo, s11
.LBB8_1611:
	s_or_b32 exec_lo, exec_lo, s5
	global_store_byte v[6:7], v11, off
.LBB8_1612:
	s_mov_b32 s5, -1
.LBB8_1613:
	s_mov_b32 s10, 0
.LBB8_1614:
	s_and_b32 vcc_lo, exec_lo, s10
	s_cbranch_vccz .LBB8_1654
; %bb.1615:
	s_cmp_gt_i32 s1, 22
	s_mov_b32 s3, -1
	s_cbranch_scc0 .LBB8_1647
; %bb.1616:
	s_cmp_lt_i32 s1, 24
	s_cbranch_scc1 .LBB8_1636
; %bb.1617:
	s_cmp_gt_i32 s1, 24
	s_cbranch_scc0 .LBB8_1625
; %bb.1618:
	v_cvt_f32_f64_e32 v2, v[0:1]
	v_mov_b32_e32 v11, 0x80
	s_mov_b32 s3, exec_lo
	v_and_b32_e32 v3, 0x7fffffff, v2
	v_cmpx_gt_u32_e32 0x47800000, v3
	s_cbranch_execz .LBB8_1624
; %bb.1619:
	v_cmp_lt_u32_e32 vcc_lo, 0x37ffffff, v3
	s_mov_b32 s5, 0
                                        ; implicit-def: $vgpr3
	s_and_saveexec_b32 s10, vcc_lo
	s_xor_b32 s10, exec_lo, s10
	s_cbranch_execz .LBB8_2064
; %bb.1620:
	v_bfe_u32 v3, v2, 21, 1
	s_mov_b32 s5, exec_lo
	v_add3_u32 v3, v2, v3, 0x88fffff
	v_lshrrev_b32_e32 v3, 21, v3
	s_andn2_saveexec_b32 s10, s10
	s_cbranch_execnz .LBB8_2065
.LBB8_1621:
	s_or_b32 exec_lo, exec_lo, s10
	v_mov_b32_e32 v11, 0
	s_and_saveexec_b32 s10, s5
.LBB8_1622:
	v_lshrrev_b32_e32 v2, 24, v2
	v_and_or_b32 v11, 0x80, v2, v3
.LBB8_1623:
	s_or_b32 exec_lo, exec_lo, s10
.LBB8_1624:
	s_or_b32 exec_lo, exec_lo, s3
	s_mov_b32 s3, 0
	global_store_byte v[6:7], v11, off
.LBB8_1625:
	s_and_b32 vcc_lo, exec_lo, s3
	s_cbranch_vccz .LBB8_1635
; %bb.1626:
	v_cvt_f32_f64_e32 v2, v[0:1]
	s_mov_b32 s3, exec_lo
                                        ; implicit-def: $vgpr3
	v_and_b32_e32 v11, 0x7fffffff, v2
	v_cmpx_gt_u32_e32 0x43f00000, v11
	s_xor_b32 s3, exec_lo, s3
	s_cbranch_execz .LBB8_1632
; %bb.1627:
	s_mov_b32 s5, exec_lo
                                        ; implicit-def: $vgpr3
	v_cmpx_lt_u32_e32 0x3c7fffff, v11
	s_xor_b32 s5, exec_lo, s5
; %bb.1628:
	v_bfe_u32 v3, v2, 20, 1
	v_add3_u32 v3, v2, v3, 0x407ffff
	v_and_b32_e32 v11, 0xff00000, v3
	v_lshrrev_b32_e32 v3, 20, v3
	v_cmp_ne_u32_e32 vcc_lo, 0x7f00000, v11
	v_cndmask_b32_e32 v3, 0x7e, v3, vcc_lo
; %bb.1629:
	s_andn2_saveexec_b32 s5, s5
; %bb.1630:
	v_add_f32_e64 v3, 0x46800000, |v2|
; %bb.1631:
	s_or_b32 exec_lo, exec_lo, s5
                                        ; implicit-def: $vgpr11
.LBB8_1632:
	s_andn2_saveexec_b32 s3, s3
; %bb.1633:
	v_mov_b32_e32 v3, 0x7f
	v_cmp_lt_u32_e32 vcc_lo, 0x7f800000, v11
	v_cndmask_b32_e32 v3, 0x7e, v3, vcc_lo
; %bb.1634:
	s_or_b32 exec_lo, exec_lo, s3
	v_lshrrev_b32_e32 v2, 24, v2
	v_and_or_b32 v2, 0x80, v2, v3
	global_store_byte v[6:7], v2, off
.LBB8_1635:
	s_mov_b32 s3, 0
.LBB8_1636:
	s_andn2_b32 vcc_lo, exec_lo, s3
	s_cbranch_vccnz .LBB8_1646
; %bb.1637:
	v_cvt_f32_f64_e32 v2, v[0:1]
	s_mov_b32 s3, exec_lo
                                        ; implicit-def: $vgpr3
	v_and_b32_e32 v11, 0x7fffffff, v2
	v_cmpx_gt_u32_e32 0x47800000, v11
	s_xor_b32 s3, exec_lo, s3
	s_cbranch_execz .LBB8_1643
; %bb.1638:
	s_mov_b32 s5, exec_lo
                                        ; implicit-def: $vgpr3
	v_cmpx_lt_u32_e32 0x387fffff, v11
	s_xor_b32 s5, exec_lo, s5
; %bb.1639:
	v_bfe_u32 v3, v2, 21, 1
	v_add3_u32 v3, v2, v3, 0x80fffff
	v_lshrrev_b32_e32 v3, 21, v3
; %bb.1640:
	s_andn2_saveexec_b32 s5, s5
; %bb.1641:
	v_add_f32_e64 v3, 0x43000000, |v2|
; %bb.1642:
	s_or_b32 exec_lo, exec_lo, s5
                                        ; implicit-def: $vgpr11
.LBB8_1643:
	s_andn2_saveexec_b32 s3, s3
; %bb.1644:
	v_mov_b32_e32 v3, 0x7f
	v_cmp_lt_u32_e32 vcc_lo, 0x7f800000, v11
	v_cndmask_b32_e32 v3, 0x7c, v3, vcc_lo
; %bb.1645:
	s_or_b32 exec_lo, exec_lo, s3
	v_lshrrev_b32_e32 v2, 24, v2
	v_and_or_b32 v2, 0x80, v2, v3
	global_store_byte v[6:7], v2, off
.LBB8_1646:
	s_mov_b32 s3, 0
	s_mov_b32 s5, -1
.LBB8_1647:
	s_andn2_b32 vcc_lo, exec_lo, s3
	s_mov_b32 s3, 0
	s_cbranch_vccnz .LBB8_1654
; %bb.1648:
	s_cmp_gt_i32 s1, 14
	s_mov_b32 s3, -1
	s_cbranch_scc0 .LBB8_1652
; %bb.1649:
	s_cmp_eq_u32 s1, 15
	s_mov_b32 s0, -1
	s_cbranch_scc0 .LBB8_1651
; %bb.1650:
	v_cvt_f32_f64_e32 v2, v[0:1]
	s_mov_b32 s0, 0
	s_mov_b32 s5, -1
	v_bfe_u32 v3, v2, 16, 1
	v_cmp_o_f32_e32 vcc_lo, v2, v2
	v_add3_u32 v2, v2, v3, 0x7fff
	v_mov_b32_e32 v3, 0x7fc0
	v_cndmask_b32_sdwa v2, v3, v2, vcc_lo dst_sel:DWORD dst_unused:UNUSED_PAD src0_sel:DWORD src1_sel:WORD_1
	global_store_short v[6:7], v2, off
.LBB8_1651:
	s_mov_b32 s3, 0
.LBB8_1652:
	s_and_b32 vcc_lo, exec_lo, s3
	s_mov_b32 s3, 0
	s_cbranch_vccz .LBB8_1654
; %bb.1653:
	s_cmp_lg_u32 s1, 11
	s_mov_b32 s3, -1
	s_cselect_b32 s0, -1, 0
.LBB8_1654:
	s_and_b32 vcc_lo, exec_lo, s0
	s_cbranch_vccnz .LBB8_2063
; %bb.1655:
	s_andn2_b32 vcc_lo, exec_lo, s3
	s_cbranch_vccnz .LBB8_1657
.LBB8_1656:
	v_cmp_neq_f64_e32 vcc_lo, 0, v[0:1]
	s_mov_b32 s5, -1
	v_cndmask_b32_e64 v2, 0, 1, vcc_lo
	global_store_byte v[6:7], v2, off
.LBB8_1657:
	s_mov_b32 s0, 0
	s_branch .LBB8_1704
.LBB8_1658:
	s_mov_b32 s0, 0
	s_mov_b32 s2, 0
                                        ; implicit-def: $sgpr12
                                        ; implicit-def: $vgpr0_vgpr1
                                        ; implicit-def: $vgpr12_vgpr13
.LBB8_1659:
	s_andn2_b32 s1, s7, exec_lo
	s_and_b32 s3, s4, exec_lo
	s_and_b32 s0, s0, exec_lo
	;; [unrolled: 1-line block ×3, first 2 shown]
	s_or_b32 s7, s1, s3
.LBB8_1660:
	s_or_b32 exec_lo, exec_lo, s6
	s_and_saveexec_b32 s1, s7
	s_cbranch_execz .LBB8_1663
; %bb.1661:
	; divergent unreachable
	s_or_b32 exec_lo, exec_lo, s1
	s_and_saveexec_b32 s1, s4
	s_xor_b32 s1, exec_lo, s1
	s_cbranch_execnz .LBB8_1664
.LBB8_1662:
	s_or_b32 exec_lo, exec_lo, s1
	s_and_saveexec_b32 s1, s0
	s_cbranch_execnz .LBB8_1665
	s_branch .LBB8_1702
.LBB8_1663:
	s_or_b32 exec_lo, exec_lo, s1
	s_and_saveexec_b32 s1, s4
	s_xor_b32 s1, exec_lo, s1
	s_cbranch_execz .LBB8_1662
.LBB8_1664:
	v_cmp_neq_f64_e32 vcc_lo, 0, v[12:13]
	s_waitcnt vmcnt(0)
	v_cndmask_b32_e64 v2, 0, 1, vcc_lo
	global_store_byte v[0:1], v2, off
	s_or_b32 exec_lo, exec_lo, s1
	s_and_saveexec_b32 s1, s0
	s_cbranch_execz .LBB8_1702
.LBB8_1665:
	s_sext_i32_i16 s1, s12
	s_mov_b32 s0, -1
	s_cmp_lt_i32 s1, 5
	s_cbranch_scc1 .LBB8_1686
; %bb.1666:
	s_cmp_lt_i32 s1, 8
	s_cbranch_scc1 .LBB8_1676
; %bb.1667:
	;; [unrolled: 3-line block ×3, first 2 shown]
	s_cmp_gt_i32 s1, 9
	s_cbranch_scc0 .LBB8_1670
; %bb.1669:
	v_mov_b32_e32 v14, 0
	s_mov_b32 s0, 0
	v_mov_b32_e32 v15, v14
	global_store_dwordx4 v[0:1], v[12:15], off
.LBB8_1670:
	s_andn2_b32 vcc_lo, exec_lo, s0
	s_cbranch_vccnz .LBB8_1672
; %bb.1671:
	s_waitcnt vmcnt(0)
	v_cvt_f32_f64_e32 v2, v[12:13]
	v_mov_b32_e32 v3, 0
	global_store_dwordx2 v[0:1], v[2:3], off
.LBB8_1672:
	s_mov_b32 s0, 0
.LBB8_1673:
	s_andn2_b32 vcc_lo, exec_lo, s0
	s_cbranch_vccnz .LBB8_1675
; %bb.1674:
	s_waitcnt vmcnt(0)
	v_and_or_b32 v2, 0x1ff, v13, v12
	v_lshrrev_b32_e32 v3, 8, v13
	v_bfe_u32 v4, v13, 20, 11
	v_cmp_ne_u32_e32 vcc_lo, 0, v2
	v_sub_nc_u32_e32 v5, 0x3f1, v4
	v_add_nc_u32_e32 v4, 0xfffffc10, v4
	v_cndmask_b32_e64 v2, 0, 1, vcc_lo
	v_and_or_b32 v2, 0xffe, v3, v2
	v_med3_i32 v3, v5, 0, 13
	v_or_b32_e32 v5, 0x1000, v2
	v_lshrrev_b32_e32 v6, v3, v5
	v_lshlrev_b32_e32 v3, v3, v6
	v_cmp_ne_u32_e32 vcc_lo, v3, v5
	v_lshl_or_b32 v5, v4, 12, v2
	v_cndmask_b32_e64 v3, 0, 1, vcc_lo
	v_cmp_gt_i32_e32 vcc_lo, 1, v4
	v_or_b32_e32 v3, v6, v3
	v_cndmask_b32_e32 v3, v5, v3, vcc_lo
	v_and_b32_e32 v5, 7, v3
	v_lshrrev_b32_e32 v3, 2, v3
	v_cmp_lt_i32_e32 vcc_lo, 5, v5
	v_cndmask_b32_e64 v6, 0, 1, vcc_lo
	v_cmp_eq_u32_e32 vcc_lo, 3, v5
	v_cndmask_b32_e64 v5, 0, 1, vcc_lo
	v_cmp_ne_u32_e32 vcc_lo, 0, v2
	v_or_b32_e32 v5, v5, v6
	v_mov_b32_e32 v6, 0x7e00
	v_add_nc_u32_e32 v3, v3, v5
	v_cndmask_b32_e32 v2, 0x7c00, v6, vcc_lo
	v_cmp_gt_i32_e32 vcc_lo, 31, v4
	v_cndmask_b32_e32 v3, 0x7c00, v3, vcc_lo
	v_cmp_eq_u32_e32 vcc_lo, 0x40f, v4
	v_cndmask_b32_e32 v2, v3, v2, vcc_lo
	v_lshrrev_b32_e32 v3, 16, v13
	v_and_or_b32 v2, 0x8000, v3, v2
	v_and_b32_e32 v2, 0xffff, v2
	global_store_dword v[0:1], v2, off
.LBB8_1675:
	s_mov_b32 s0, 0
.LBB8_1676:
	s_andn2_b32 vcc_lo, exec_lo, s0
	s_cbranch_vccnz .LBB8_1685
; %bb.1677:
	s_sext_i32_i16 s1, s12
	s_mov_b32 s0, -1
	s_cmp_lt_i32 s1, 6
	s_cbranch_scc1 .LBB8_1683
; %bb.1678:
	s_cmp_gt_i32 s1, 6
	s_cbranch_scc0 .LBB8_1680
; %bb.1679:
	s_mov_b32 s0, 0
	global_store_dwordx2 v[0:1], v[12:13], off
.LBB8_1680:
	s_andn2_b32 vcc_lo, exec_lo, s0
	s_cbranch_vccnz .LBB8_1682
; %bb.1681:
	s_waitcnt vmcnt(0)
	v_cvt_f32_f64_e32 v2, v[12:13]
	global_store_dword v[0:1], v2, off
.LBB8_1682:
	s_mov_b32 s0, 0
.LBB8_1683:
	s_andn2_b32 vcc_lo, exec_lo, s0
	s_cbranch_vccnz .LBB8_1685
; %bb.1684:
	s_waitcnt vmcnt(0)
	v_and_or_b32 v2, 0x1ff, v13, v12
	v_lshrrev_b32_e32 v3, 8, v13
	v_bfe_u32 v4, v13, 20, 11
	v_cmp_ne_u32_e32 vcc_lo, 0, v2
	v_sub_nc_u32_e32 v5, 0x3f1, v4
	v_add_nc_u32_e32 v4, 0xfffffc10, v4
	v_cndmask_b32_e64 v2, 0, 1, vcc_lo
	v_and_or_b32 v2, 0xffe, v3, v2
	v_med3_i32 v3, v5, 0, 13
	v_or_b32_e32 v5, 0x1000, v2
	v_lshrrev_b32_e32 v6, v3, v5
	v_lshlrev_b32_e32 v3, v3, v6
	v_cmp_ne_u32_e32 vcc_lo, v3, v5
	v_lshl_or_b32 v5, v4, 12, v2
	v_cndmask_b32_e64 v3, 0, 1, vcc_lo
	v_cmp_gt_i32_e32 vcc_lo, 1, v4
	v_or_b32_e32 v3, v6, v3
	v_cndmask_b32_e32 v3, v5, v3, vcc_lo
	v_and_b32_e32 v5, 7, v3
	v_lshrrev_b32_e32 v3, 2, v3
	v_cmp_lt_i32_e32 vcc_lo, 5, v5
	v_cndmask_b32_e64 v6, 0, 1, vcc_lo
	v_cmp_eq_u32_e32 vcc_lo, 3, v5
	v_cndmask_b32_e64 v5, 0, 1, vcc_lo
	v_cmp_ne_u32_e32 vcc_lo, 0, v2
	v_or_b32_e32 v5, v5, v6
	v_mov_b32_e32 v6, 0x7e00
	v_add_nc_u32_e32 v3, v3, v5
	v_cndmask_b32_e32 v2, 0x7c00, v6, vcc_lo
	v_cmp_gt_i32_e32 vcc_lo, 31, v4
	v_cndmask_b32_e32 v3, 0x7c00, v3, vcc_lo
	v_cmp_eq_u32_e32 vcc_lo, 0x40f, v4
	v_cndmask_b32_e32 v2, v3, v2, vcc_lo
	v_lshrrev_b32_e32 v3, 16, v13
	v_and_or_b32 v2, 0x8000, v3, v2
	global_store_short v[0:1], v2, off
.LBB8_1685:
	s_mov_b32 s0, 0
.LBB8_1686:
	s_andn2_b32 vcc_lo, exec_lo, s0
	s_cbranch_vccnz .LBB8_1702
; %bb.1687:
	s_sext_i32_i16 s1, s12
	s_mov_b32 s0, -1
	s_cmp_lt_i32 s1, 2
	s_cbranch_scc1 .LBB8_1697
; %bb.1688:
	s_cmp_lt_i32 s1, 3
	s_cbranch_scc1 .LBB8_1694
; %bb.1689:
	s_cmp_gt_i32 s1, 3
	s_cbranch_scc0 .LBB8_1691
; %bb.1690:
	s_waitcnt vmcnt(0)
	v_trunc_f64_e32 v[2:3], v[12:13]
	s_mov_b32 s0, 0
	v_ldexp_f64 v[4:5], v[2:3], 0xffffffe0
	v_floor_f64_e32 v[4:5], v[4:5]
	v_fma_f64 v[2:3], 0xc1f00000, v[4:5], v[2:3]
	v_cvt_i32_f64_e32 v4, v[4:5]
	v_cvt_u32_f64_e32 v3, v[2:3]
	global_store_dwordx2 v[0:1], v[3:4], off
.LBB8_1691:
	s_andn2_b32 vcc_lo, exec_lo, s0
	s_cbranch_vccnz .LBB8_1693
; %bb.1692:
	s_waitcnt vmcnt(0)
	v_cvt_i32_f64_e32 v2, v[12:13]
	global_store_dword v[0:1], v2, off
.LBB8_1693:
	s_mov_b32 s0, 0
.LBB8_1694:
	s_andn2_b32 vcc_lo, exec_lo, s0
	s_cbranch_vccnz .LBB8_1696
; %bb.1695:
	s_waitcnt vmcnt(0)
	v_cvt_i32_f64_e32 v2, v[12:13]
	global_store_short v[0:1], v2, off
.LBB8_1696:
	s_mov_b32 s0, 0
.LBB8_1697:
	s_andn2_b32 vcc_lo, exec_lo, s0
	s_cbranch_vccnz .LBB8_1702
; %bb.1698:
	s_sext_i32_i16 s0, s12
	s_cmp_gt_i32 s0, 0
	s_mov_b32 s0, -1
	s_cbranch_scc0 .LBB8_1700
; %bb.1699:
	s_waitcnt vmcnt(0)
	v_cvt_i32_f64_e32 v2, v[12:13]
	s_mov_b32 s0, 0
	global_store_byte v[0:1], v2, off
.LBB8_1700:
	s_andn2_b32 vcc_lo, exec_lo, s0
	s_cbranch_vccnz .LBB8_1702
; %bb.1701:
	s_waitcnt vmcnt(0)
	v_trunc_f64_e32 v[2:3], v[12:13]
	v_ldexp_f64 v[4:5], v[2:3], 0xffffffe0
	v_floor_f64_e32 v[4:5], v[4:5]
	v_fma_f64 v[2:3], 0xc1f00000, v[4:5], v[2:3]
	v_cvt_u32_f64_e32 v2, v[2:3]
	global_store_byte v[0:1], v2, off
	s_endpgm
.LBB8_1702:
	s_endpgm
.LBB8_1703:
	s_mov_b32 s0, -1
	s_mov_b32 s5, 0
.LBB8_1704:
	s_and_b32 vcc_lo, exec_lo, s0
	s_cbranch_vccz .LBB8_1743
; %bb.1705:
	s_and_b32 s0, 0xffff, s12
	s_mov_b32 s1, -1
	s_cmp_lt_i32 s0, 5
	s_cbranch_scc1 .LBB8_1726
; %bb.1706:
	s_cmp_lt_i32 s0, 8
	s_cbranch_scc1 .LBB8_1716
; %bb.1707:
	;; [unrolled: 3-line block ×3, first 2 shown]
	s_cmp_gt_i32 s0, 9
	s_cbranch_scc0 .LBB8_1710
; %bb.1709:
	v_mov_b32_e32 v2, 0
	s_mov_b32 s1, 0
	v_mov_b32_e32 v3, v2
	global_store_dwordx4 v[6:7], v[0:3], off
.LBB8_1710:
	s_andn2_b32 vcc_lo, exec_lo, s1
	s_cbranch_vccnz .LBB8_1712
; %bb.1711:
	v_cvt_f32_f64_e32 v2, v[0:1]
	v_mov_b32_e32 v3, 0
	global_store_dwordx2 v[6:7], v[2:3], off
.LBB8_1712:
	s_mov_b32 s1, 0
.LBB8_1713:
	s_andn2_b32 vcc_lo, exec_lo, s1
	s_cbranch_vccnz .LBB8_1715
; %bb.1714:
	v_and_or_b32 v2, 0x1ff, v1, v0
	v_lshrrev_b32_e32 v3, 8, v1
	v_bfe_u32 v11, v1, 20, 11
	v_cmp_ne_u32_e32 vcc_lo, 0, v2
	v_sub_nc_u32_e32 v14, 0x3f1, v11
	v_add_nc_u32_e32 v11, 0xfffffc10, v11
	v_cndmask_b32_e64 v2, 0, 1, vcc_lo
	v_and_or_b32 v2, 0xffe, v3, v2
	v_med3_i32 v3, v14, 0, 13
	v_or_b32_e32 v14, 0x1000, v2
	v_lshrrev_b32_e32 v15, v3, v14
	v_lshlrev_b32_e32 v3, v3, v15
	v_cmp_ne_u32_e32 vcc_lo, v3, v14
	v_lshl_or_b32 v14, v11, 12, v2
	v_cndmask_b32_e64 v3, 0, 1, vcc_lo
	v_cmp_gt_i32_e32 vcc_lo, 1, v11
	v_or_b32_e32 v3, v15, v3
	v_cndmask_b32_e32 v3, v14, v3, vcc_lo
	v_and_b32_e32 v14, 7, v3
	v_lshrrev_b32_e32 v3, 2, v3
	v_cmp_lt_i32_e32 vcc_lo, 5, v14
	v_cndmask_b32_e64 v15, 0, 1, vcc_lo
	v_cmp_eq_u32_e32 vcc_lo, 3, v14
	v_cndmask_b32_e64 v14, 0, 1, vcc_lo
	v_cmp_ne_u32_e32 vcc_lo, 0, v2
	v_or_b32_e32 v14, v14, v15
	v_mov_b32_e32 v15, 0x7e00
	v_add_nc_u32_e32 v3, v3, v14
	v_cndmask_b32_e32 v2, 0x7c00, v15, vcc_lo
	v_cmp_gt_i32_e32 vcc_lo, 31, v11
	v_cndmask_b32_e32 v3, 0x7c00, v3, vcc_lo
	v_cmp_eq_u32_e32 vcc_lo, 0x40f, v11
	v_cndmask_b32_e32 v2, v3, v2, vcc_lo
	v_lshrrev_b32_e32 v3, 16, v1
	v_and_or_b32 v2, 0x8000, v3, v2
	v_and_b32_e32 v2, 0xffff, v2
	global_store_dword v[6:7], v2, off
.LBB8_1715:
	s_mov_b32 s1, 0
.LBB8_1716:
	s_andn2_b32 vcc_lo, exec_lo, s1
	s_cbranch_vccnz .LBB8_1725
; %bb.1717:
	s_cmp_lt_i32 s0, 6
	s_mov_b32 s1, -1
	s_cbranch_scc1 .LBB8_1723
; %bb.1718:
	s_cmp_gt_i32 s0, 6
	s_cbranch_scc0 .LBB8_1720
; %bb.1719:
	s_mov_b32 s1, 0
	global_store_dwordx2 v[6:7], v[0:1], off
.LBB8_1720:
	s_andn2_b32 vcc_lo, exec_lo, s1
	s_cbranch_vccnz .LBB8_1722
; %bb.1721:
	v_cvt_f32_f64_e32 v2, v[0:1]
	global_store_dword v[6:7], v2, off
.LBB8_1722:
	s_mov_b32 s1, 0
.LBB8_1723:
	s_andn2_b32 vcc_lo, exec_lo, s1
	s_cbranch_vccnz .LBB8_1725
; %bb.1724:
	v_and_or_b32 v2, 0x1ff, v1, v0
	v_lshrrev_b32_e32 v3, 8, v1
	v_bfe_u32 v11, v1, 20, 11
	v_cmp_ne_u32_e32 vcc_lo, 0, v2
	v_sub_nc_u32_e32 v14, 0x3f1, v11
	v_add_nc_u32_e32 v11, 0xfffffc10, v11
	v_cndmask_b32_e64 v2, 0, 1, vcc_lo
	v_and_or_b32 v2, 0xffe, v3, v2
	v_med3_i32 v3, v14, 0, 13
	v_or_b32_e32 v14, 0x1000, v2
	v_lshrrev_b32_e32 v15, v3, v14
	v_lshlrev_b32_e32 v3, v3, v15
	v_cmp_ne_u32_e32 vcc_lo, v3, v14
	v_lshl_or_b32 v14, v11, 12, v2
	v_cndmask_b32_e64 v3, 0, 1, vcc_lo
	v_cmp_gt_i32_e32 vcc_lo, 1, v11
	v_or_b32_e32 v3, v15, v3
	v_cndmask_b32_e32 v3, v14, v3, vcc_lo
	v_and_b32_e32 v14, 7, v3
	v_lshrrev_b32_e32 v3, 2, v3
	v_cmp_lt_i32_e32 vcc_lo, 5, v14
	v_cndmask_b32_e64 v15, 0, 1, vcc_lo
	v_cmp_eq_u32_e32 vcc_lo, 3, v14
	v_cndmask_b32_e64 v14, 0, 1, vcc_lo
	v_cmp_ne_u32_e32 vcc_lo, 0, v2
	v_or_b32_e32 v14, v14, v15
	v_mov_b32_e32 v15, 0x7e00
	v_add_nc_u32_e32 v3, v3, v14
	v_cndmask_b32_e32 v2, 0x7c00, v15, vcc_lo
	v_cmp_gt_i32_e32 vcc_lo, 31, v11
	v_cndmask_b32_e32 v3, 0x7c00, v3, vcc_lo
	v_cmp_eq_u32_e32 vcc_lo, 0x40f, v11
	v_cndmask_b32_e32 v2, v3, v2, vcc_lo
	v_lshrrev_b32_e32 v3, 16, v1
	v_and_or_b32 v2, 0x8000, v3, v2
	global_store_short v[6:7], v2, off
.LBB8_1725:
	s_mov_b32 s1, 0
.LBB8_1726:
	s_andn2_b32 vcc_lo, exec_lo, s1
	s_cbranch_vccnz .LBB8_1742
; %bb.1727:
	s_cmp_lt_i32 s0, 2
	s_mov_b32 s1, -1
	s_cbranch_scc1 .LBB8_1737
; %bb.1728:
	s_cmp_lt_i32 s0, 3
	s_cbranch_scc1 .LBB8_1734
; %bb.1729:
	s_cmp_gt_i32 s0, 3
	s_cbranch_scc0 .LBB8_1731
; %bb.1730:
	v_trunc_f64_e32 v[2:3], v[0:1]
	s_mov_b32 s1, 0
	v_ldexp_f64 v[14:15], v[2:3], 0xffffffe0
	v_floor_f64_e32 v[14:15], v[14:15]
	v_fma_f64 v[2:3], 0xc1f00000, v[14:15], v[2:3]
	v_cvt_i32_f64_e32 v15, v[14:15]
	v_cvt_u32_f64_e32 v14, v[2:3]
	global_store_dwordx2 v[6:7], v[14:15], off
.LBB8_1731:
	s_andn2_b32 vcc_lo, exec_lo, s1
	s_cbranch_vccnz .LBB8_1733
; %bb.1732:
	v_cvt_i32_f64_e32 v2, v[0:1]
	global_store_dword v[6:7], v2, off
.LBB8_1733:
	s_mov_b32 s1, 0
.LBB8_1734:
	s_andn2_b32 vcc_lo, exec_lo, s1
	s_cbranch_vccnz .LBB8_1736
; %bb.1735:
	v_cvt_i32_f64_e32 v2, v[0:1]
	global_store_short v[6:7], v2, off
.LBB8_1736:
	s_mov_b32 s1, 0
.LBB8_1737:
	s_andn2_b32 vcc_lo, exec_lo, s1
	s_cbranch_vccnz .LBB8_1742
; %bb.1738:
	s_cmp_gt_i32 s0, 0
	s_mov_b32 s0, -1
	s_cbranch_scc0 .LBB8_1740
; %bb.1739:
	v_cvt_i32_f64_e32 v2, v[0:1]
	s_mov_b32 s0, 0
	global_store_byte v[6:7], v2, off
.LBB8_1740:
	s_andn2_b32 vcc_lo, exec_lo, s0
	s_cbranch_vccnz .LBB8_1742
; %bb.1741:
	v_trunc_f64_e32 v[0:1], v[0:1]
	v_ldexp_f64 v[2:3], v[0:1], 0xffffffe0
	v_floor_f64_e32 v[2:3], v[2:3]
	v_fma_f64 v[0:1], 0xc1f00000, v[2:3], v[0:1]
	v_cvt_u32_f64_e32 v0, v[0:1]
	global_store_byte v[6:7], v0, off
.LBB8_1742:
	s_mov_b32 s5, -1
.LBB8_1743:
	s_andn2_b32 vcc_lo, exec_lo, s5
	s_cbranch_vccnz .LBB8_2058
; %bb.1744:
	s_lshl_b32 s1, s2, 7
	s_cmp_lt_i32 s12, 11
	v_add_nc_u32_e32 v2, s1, v10
	v_ashrrev_i32_e32 v1, 31, v2
	v_add_co_u32 v0, vcc_lo, s8, v2
	v_add_co_ci_u32_e64 v1, null, s9, v1, vcc_lo
	s_cbranch_scc1 .LBB8_1822
; %bb.1745:
	s_and_b32 s2, 0xffff, s12
	s_mov_b32 s10, -1
	s_mov_b32 s3, 0
	s_cmp_gt_i32 s2, 25
	s_mov_b32 s5, 0
	s_mov_b32 s0, 0
	s_cbranch_scc0 .LBB8_1778
; %bb.1746:
	s_cmp_gt_i32 s2, 28
	s_cbranch_scc0 .LBB8_1761
; %bb.1747:
	s_cmp_gt_i32 s2, 43
	;; [unrolled: 3-line block ×3, first 2 shown]
	s_cbranch_scc0 .LBB8_1751
; %bb.1749:
	s_mov_b32 s0, -1
	s_mov_b32 s10, 0
	s_cmp_eq_u32 s2, 46
	s_cbranch_scc0 .LBB8_1751
; %bb.1750:
	v_cvt_f32_f64_e32 v3, v[4:5]
	s_mov_b32 s0, 0
	s_mov_b32 s5, -1
	v_bfe_u32 v6, v3, 16, 1
	v_cmp_o_f32_e32 vcc_lo, v3, v3
	v_add3_u32 v3, v3, v6, 0x7fff
	v_mov_b32_e32 v6, 0x7fc0
	v_cndmask_b32_sdwa v3, v6, v3, vcc_lo dst_sel:DWORD dst_unused:UNUSED_PAD src0_sel:DWORD src1_sel:WORD_1
	global_store_dword v[0:1], v3, off
.LBB8_1751:
	s_and_b32 vcc_lo, exec_lo, s10
	s_cbranch_vccz .LBB8_1756
; %bb.1752:
	s_cmp_eq_u32 s2, 44
	s_mov_b32 s0, -1
	s_cbranch_scc0 .LBB8_1756
; %bb.1753:
	v_cvt_f32_f64_e32 v3, v[4:5]
	v_mov_b32_e32 v6, 0xff
	s_mov_b32 s5, exec_lo
	v_bfe_u32 v7, v3, 23, 8
	v_cmpx_ne_u32_e32 0xff, v7
	s_cbranch_execz .LBB8_1755
; %bb.1754:
	v_and_b32_e32 v6, 0x400000, v3
	v_and_or_b32 v7, 0x3fffff, v3, v7
	v_lshrrev_b32_e32 v3, 23, v3
	v_cmp_ne_u32_e32 vcc_lo, 0, v6
	v_cmp_ne_u32_e64 s0, 0, v7
	s_and_b32 s0, vcc_lo, s0
	v_cndmask_b32_e64 v6, 0, 1, s0
	v_add_nc_u32_e32 v6, v3, v6
.LBB8_1755:
	s_or_b32 exec_lo, exec_lo, s5
	s_mov_b32 s0, 0
	s_mov_b32 s5, -1
	global_store_byte v[0:1], v6, off
.LBB8_1756:
	s_mov_b32 s10, 0
.LBB8_1757:
	s_and_b32 vcc_lo, exec_lo, s10
	s_cbranch_vccz .LBB8_1760
; %bb.1758:
	s_cmp_eq_u32 s2, 29
	s_mov_b32 s0, -1
	s_cbranch_scc0 .LBB8_1760
; %bb.1759:
	v_trunc_f64_e32 v[6:7], v[4:5]
	s_mov_b32 s0, 0
	s_mov_b32 s5, -1
	v_ldexp_f64 v[10:11], v[6:7], 0xffffffe0
	v_floor_f64_e32 v[10:11], v[10:11]
	v_fma_f64 v[6:7], 0xc1f00000, v[10:11], v[6:7]
	v_cvt_u32_f64_e32 v11, v[10:11]
	v_cvt_u32_f64_e32 v10, v[6:7]
	global_store_dwordx2 v[0:1], v[10:11], off
.LBB8_1760:
	s_mov_b32 s10, 0
.LBB8_1761:
	s_and_b32 vcc_lo, exec_lo, s10
	s_cbranch_vccz .LBB8_1777
; %bb.1762:
	s_cmp_lt_i32 s2, 27
	s_mov_b32 s5, -1
	s_cbranch_scc1 .LBB8_1768
; %bb.1763:
	v_cvt_u32_f64_e32 v3, v[4:5]
	s_cmp_gt_i32 s2, 27
	s_cbranch_scc0 .LBB8_1765
; %bb.1764:
	s_mov_b32 s5, 0
	global_store_dword v[0:1], v3, off
.LBB8_1765:
	s_andn2_b32 vcc_lo, exec_lo, s5
	s_cbranch_vccnz .LBB8_1767
; %bb.1766:
	global_store_short v[0:1], v3, off
.LBB8_1767:
	s_mov_b32 s5, 0
.LBB8_1768:
	s_andn2_b32 vcc_lo, exec_lo, s5
	s_cbranch_vccnz .LBB8_1776
; %bb.1769:
	v_cvt_f32_f64_e32 v3, v[4:5]
	v_mov_b32_e32 v7, 0x80
	s_mov_b32 s5, exec_lo
	v_and_b32_e32 v6, 0x7fffffff, v3
	v_cmpx_gt_u32_e32 0x43800000, v6
	s_cbranch_execz .LBB8_1775
; %bb.1770:
	v_cmp_lt_u32_e32 vcc_lo, 0x3bffffff, v6
	s_mov_b32 s10, 0
                                        ; implicit-def: $vgpr6
	s_and_saveexec_b32 s11, vcc_lo
	s_xor_b32 s11, exec_lo, s11
	s_cbranch_execz .LBB8_2066
; %bb.1771:
	v_bfe_u32 v6, v3, 20, 1
	s_mov_b32 s10, exec_lo
	v_add3_u32 v6, v3, v6, 0x487ffff
	v_lshrrev_b32_e32 v6, 20, v6
	s_andn2_saveexec_b32 s11, s11
	s_cbranch_execnz .LBB8_2067
.LBB8_1772:
	s_or_b32 exec_lo, exec_lo, s11
	v_mov_b32_e32 v7, 0
	s_and_saveexec_b32 s11, s10
.LBB8_1773:
	v_lshrrev_b32_e32 v3, 24, v3
	v_and_or_b32 v7, 0x80, v3, v6
.LBB8_1774:
	s_or_b32 exec_lo, exec_lo, s11
.LBB8_1775:
	s_or_b32 exec_lo, exec_lo, s5
	global_store_byte v[0:1], v7, off
.LBB8_1776:
	s_mov_b32 s5, -1
.LBB8_1777:
	s_mov_b32 s10, 0
.LBB8_1778:
	s_and_b32 vcc_lo, exec_lo, s10
	s_cbranch_vccz .LBB8_1818
; %bb.1779:
	s_cmp_gt_i32 s2, 22
	s_mov_b32 s3, -1
	s_cbranch_scc0 .LBB8_1811
; %bb.1780:
	s_cmp_lt_i32 s2, 24
	s_cbranch_scc1 .LBB8_1800
; %bb.1781:
	s_cmp_gt_i32 s2, 24
	s_cbranch_scc0 .LBB8_1789
; %bb.1782:
	v_cvt_f32_f64_e32 v3, v[4:5]
	v_mov_b32_e32 v7, 0x80
	s_mov_b32 s3, exec_lo
	v_and_b32_e32 v6, 0x7fffffff, v3
	v_cmpx_gt_u32_e32 0x47800000, v6
	s_cbranch_execz .LBB8_1788
; %bb.1783:
	v_cmp_lt_u32_e32 vcc_lo, 0x37ffffff, v6
	s_mov_b32 s5, 0
                                        ; implicit-def: $vgpr6
	s_and_saveexec_b32 s10, vcc_lo
	s_xor_b32 s10, exec_lo, s10
	s_cbranch_execz .LBB8_2069
; %bb.1784:
	v_bfe_u32 v6, v3, 21, 1
	s_mov_b32 s5, exec_lo
	v_add3_u32 v6, v3, v6, 0x88fffff
	v_lshrrev_b32_e32 v6, 21, v6
	s_andn2_saveexec_b32 s10, s10
	s_cbranch_execnz .LBB8_2070
.LBB8_1785:
	s_or_b32 exec_lo, exec_lo, s10
	v_mov_b32_e32 v7, 0
	s_and_saveexec_b32 s10, s5
.LBB8_1786:
	v_lshrrev_b32_e32 v3, 24, v3
	v_and_or_b32 v7, 0x80, v3, v6
.LBB8_1787:
	s_or_b32 exec_lo, exec_lo, s10
.LBB8_1788:
	s_or_b32 exec_lo, exec_lo, s3
	s_mov_b32 s3, 0
	global_store_byte v[0:1], v7, off
.LBB8_1789:
	s_and_b32 vcc_lo, exec_lo, s3
	s_cbranch_vccz .LBB8_1799
; %bb.1790:
	v_cvt_f32_f64_e32 v3, v[4:5]
	s_mov_b32 s3, exec_lo
                                        ; implicit-def: $vgpr6
	v_and_b32_e32 v7, 0x7fffffff, v3
	v_cmpx_gt_u32_e32 0x43f00000, v7
	s_xor_b32 s3, exec_lo, s3
	s_cbranch_execz .LBB8_1796
; %bb.1791:
	s_mov_b32 s5, exec_lo
                                        ; implicit-def: $vgpr6
	v_cmpx_lt_u32_e32 0x3c7fffff, v7
	s_xor_b32 s5, exec_lo, s5
; %bb.1792:
	v_bfe_u32 v6, v3, 20, 1
	v_add3_u32 v6, v3, v6, 0x407ffff
	v_and_b32_e32 v7, 0xff00000, v6
	v_lshrrev_b32_e32 v6, 20, v6
	v_cmp_ne_u32_e32 vcc_lo, 0x7f00000, v7
	v_cndmask_b32_e32 v6, 0x7e, v6, vcc_lo
; %bb.1793:
	s_andn2_saveexec_b32 s5, s5
; %bb.1794:
	v_add_f32_e64 v6, 0x46800000, |v3|
; %bb.1795:
	s_or_b32 exec_lo, exec_lo, s5
                                        ; implicit-def: $vgpr7
.LBB8_1796:
	s_andn2_saveexec_b32 s3, s3
; %bb.1797:
	v_mov_b32_e32 v6, 0x7f
	v_cmp_lt_u32_e32 vcc_lo, 0x7f800000, v7
	v_cndmask_b32_e32 v6, 0x7e, v6, vcc_lo
; %bb.1798:
	s_or_b32 exec_lo, exec_lo, s3
	v_lshrrev_b32_e32 v3, 24, v3
	v_and_or_b32 v3, 0x80, v3, v6
	global_store_byte v[0:1], v3, off
.LBB8_1799:
	s_mov_b32 s3, 0
.LBB8_1800:
	s_andn2_b32 vcc_lo, exec_lo, s3
	s_cbranch_vccnz .LBB8_1810
; %bb.1801:
	v_cvt_f32_f64_e32 v3, v[4:5]
	s_mov_b32 s3, exec_lo
                                        ; implicit-def: $vgpr6
	v_and_b32_e32 v7, 0x7fffffff, v3
	v_cmpx_gt_u32_e32 0x47800000, v7
	s_xor_b32 s3, exec_lo, s3
	s_cbranch_execz .LBB8_1807
; %bb.1802:
	s_mov_b32 s5, exec_lo
                                        ; implicit-def: $vgpr6
	v_cmpx_lt_u32_e32 0x387fffff, v7
	s_xor_b32 s5, exec_lo, s5
; %bb.1803:
	v_bfe_u32 v6, v3, 21, 1
	v_add3_u32 v6, v3, v6, 0x80fffff
	v_lshrrev_b32_e32 v6, 21, v6
; %bb.1804:
	s_andn2_saveexec_b32 s5, s5
; %bb.1805:
	v_add_f32_e64 v6, 0x43000000, |v3|
; %bb.1806:
	s_or_b32 exec_lo, exec_lo, s5
                                        ; implicit-def: $vgpr7
.LBB8_1807:
	s_andn2_saveexec_b32 s3, s3
; %bb.1808:
	v_mov_b32_e32 v6, 0x7f
	v_cmp_lt_u32_e32 vcc_lo, 0x7f800000, v7
	v_cndmask_b32_e32 v6, 0x7c, v6, vcc_lo
; %bb.1809:
	s_or_b32 exec_lo, exec_lo, s3
	v_lshrrev_b32_e32 v3, 24, v3
	v_and_or_b32 v3, 0x80, v3, v6
	global_store_byte v[0:1], v3, off
.LBB8_1810:
	s_mov_b32 s3, 0
	s_mov_b32 s5, -1
.LBB8_1811:
	s_andn2_b32 vcc_lo, exec_lo, s3
	s_mov_b32 s3, 0
	s_cbranch_vccnz .LBB8_1818
; %bb.1812:
	s_cmp_gt_i32 s2, 14
	s_mov_b32 s3, -1
	s_cbranch_scc0 .LBB8_1816
; %bb.1813:
	s_cmp_eq_u32 s2, 15
	s_mov_b32 s0, -1
	s_cbranch_scc0 .LBB8_1815
; %bb.1814:
	v_cvt_f32_f64_e32 v3, v[4:5]
	s_mov_b32 s0, 0
	s_mov_b32 s5, -1
	v_bfe_u32 v6, v3, 16, 1
	v_cmp_o_f32_e32 vcc_lo, v3, v3
	v_add3_u32 v3, v3, v6, 0x7fff
	v_mov_b32_e32 v6, 0x7fc0
	v_cndmask_b32_sdwa v3, v6, v3, vcc_lo dst_sel:DWORD dst_unused:UNUSED_PAD src0_sel:DWORD src1_sel:WORD_1
	global_store_short v[0:1], v3, off
.LBB8_1815:
	s_mov_b32 s3, 0
.LBB8_1816:
	s_and_b32 vcc_lo, exec_lo, s3
	s_mov_b32 s3, 0
	s_cbranch_vccz .LBB8_1818
; %bb.1817:
	s_cmp_lg_u32 s2, 11
	s_mov_b32 s3, -1
	s_cselect_b32 s0, -1, 0
.LBB8_1818:
	s_and_b32 vcc_lo, exec_lo, s0
	s_cbranch_vccnz .LBB8_2068
; %bb.1819:
	s_andn2_b32 vcc_lo, exec_lo, s3
	s_cbranch_vccnz .LBB8_1821
.LBB8_1820:
	v_cmp_neq_f64_e32 vcc_lo, 0, v[4:5]
	s_mov_b32 s5, -1
	v_cndmask_b32_e64 v3, 0, 1, vcc_lo
	global_store_byte v[0:1], v3, off
.LBB8_1821:
	s_mov_b32 s0, 0
	s_branch .LBB8_1823
.LBB8_1822:
	s_mov_b32 s0, -1
	s_mov_b32 s5, 0
.LBB8_1823:
	s_and_b32 vcc_lo, exec_lo, s0
	s_cbranch_vccz .LBB8_1862
; %bb.1824:
	s_and_b32 s0, 0xffff, s12
	s_mov_b32 s2, -1
	s_cmp_lt_i32 s0, 5
	s_cbranch_scc1 .LBB8_1845
; %bb.1825:
	s_cmp_lt_i32 s0, 8
	s_cbranch_scc1 .LBB8_1835
; %bb.1826:
	;; [unrolled: 3-line block ×3, first 2 shown]
	s_cmp_gt_i32 s0, 9
	s_cbranch_scc0 .LBB8_1829
; %bb.1828:
	v_mov_b32_e32 v6, 0
	s_mov_b32 s2, 0
	v_mov_b32_e32 v7, v6
	global_store_dwordx4 v[0:1], v[4:7], off
.LBB8_1829:
	s_andn2_b32 vcc_lo, exec_lo, s2
	s_cbranch_vccnz .LBB8_1831
; %bb.1830:
	v_cvt_f32_f64_e32 v6, v[4:5]
	v_mov_b32_e32 v7, 0
	global_store_dwordx2 v[0:1], v[6:7], off
.LBB8_1831:
	s_mov_b32 s2, 0
.LBB8_1832:
	s_andn2_b32 vcc_lo, exec_lo, s2
	s_cbranch_vccnz .LBB8_1834
; %bb.1833:
	v_and_or_b32 v3, 0x1ff, v5, v4
	v_lshrrev_b32_e32 v6, 8, v5
	v_bfe_u32 v7, v5, 20, 11
	v_cmp_ne_u32_e32 vcc_lo, 0, v3
	v_sub_nc_u32_e32 v10, 0x3f1, v7
	v_add_nc_u32_e32 v7, 0xfffffc10, v7
	v_cndmask_b32_e64 v3, 0, 1, vcc_lo
	v_and_or_b32 v3, 0xffe, v6, v3
	v_med3_i32 v6, v10, 0, 13
	v_or_b32_e32 v10, 0x1000, v3
	v_lshrrev_b32_e32 v11, v6, v10
	v_lshlrev_b32_e32 v6, v6, v11
	v_cmp_ne_u32_e32 vcc_lo, v6, v10
	v_lshl_or_b32 v10, v7, 12, v3
	v_cndmask_b32_e64 v6, 0, 1, vcc_lo
	v_cmp_gt_i32_e32 vcc_lo, 1, v7
	v_or_b32_e32 v6, v11, v6
	v_cndmask_b32_e32 v6, v10, v6, vcc_lo
	v_and_b32_e32 v10, 7, v6
	v_lshrrev_b32_e32 v6, 2, v6
	v_cmp_lt_i32_e32 vcc_lo, 5, v10
	v_cndmask_b32_e64 v11, 0, 1, vcc_lo
	v_cmp_eq_u32_e32 vcc_lo, 3, v10
	v_cndmask_b32_e64 v10, 0, 1, vcc_lo
	v_cmp_ne_u32_e32 vcc_lo, 0, v3
	v_or_b32_e32 v10, v10, v11
	v_mov_b32_e32 v11, 0x7e00
	v_add_nc_u32_e32 v6, v6, v10
	v_cndmask_b32_e32 v3, 0x7c00, v11, vcc_lo
	v_cmp_gt_i32_e32 vcc_lo, 31, v7
	v_cndmask_b32_e32 v6, 0x7c00, v6, vcc_lo
	v_cmp_eq_u32_e32 vcc_lo, 0x40f, v7
	v_cndmask_b32_e32 v3, v6, v3, vcc_lo
	v_lshrrev_b32_e32 v6, 16, v5
	v_and_or_b32 v3, 0x8000, v6, v3
	v_and_b32_e32 v3, 0xffff, v3
	global_store_dword v[0:1], v3, off
.LBB8_1834:
	s_mov_b32 s2, 0
.LBB8_1835:
	s_andn2_b32 vcc_lo, exec_lo, s2
	s_cbranch_vccnz .LBB8_1844
; %bb.1836:
	s_cmp_lt_i32 s0, 6
	s_mov_b32 s2, -1
	s_cbranch_scc1 .LBB8_1842
; %bb.1837:
	s_cmp_gt_i32 s0, 6
	s_cbranch_scc0 .LBB8_1839
; %bb.1838:
	s_mov_b32 s2, 0
	global_store_dwordx2 v[0:1], v[4:5], off
.LBB8_1839:
	s_andn2_b32 vcc_lo, exec_lo, s2
	s_cbranch_vccnz .LBB8_1841
; %bb.1840:
	v_cvt_f32_f64_e32 v3, v[4:5]
	global_store_dword v[0:1], v3, off
.LBB8_1841:
	s_mov_b32 s2, 0
.LBB8_1842:
	s_andn2_b32 vcc_lo, exec_lo, s2
	s_cbranch_vccnz .LBB8_1844
; %bb.1843:
	v_and_or_b32 v3, 0x1ff, v5, v4
	v_lshrrev_b32_e32 v6, 8, v5
	v_bfe_u32 v7, v5, 20, 11
	v_cmp_ne_u32_e32 vcc_lo, 0, v3
	v_sub_nc_u32_e32 v10, 0x3f1, v7
	v_add_nc_u32_e32 v7, 0xfffffc10, v7
	v_cndmask_b32_e64 v3, 0, 1, vcc_lo
	v_and_or_b32 v3, 0xffe, v6, v3
	v_med3_i32 v6, v10, 0, 13
	v_or_b32_e32 v10, 0x1000, v3
	v_lshrrev_b32_e32 v11, v6, v10
	v_lshlrev_b32_e32 v6, v6, v11
	v_cmp_ne_u32_e32 vcc_lo, v6, v10
	v_lshl_or_b32 v10, v7, 12, v3
	v_cndmask_b32_e64 v6, 0, 1, vcc_lo
	v_cmp_gt_i32_e32 vcc_lo, 1, v7
	v_or_b32_e32 v6, v11, v6
	v_cndmask_b32_e32 v6, v10, v6, vcc_lo
	v_and_b32_e32 v10, 7, v6
	v_lshrrev_b32_e32 v6, 2, v6
	v_cmp_lt_i32_e32 vcc_lo, 5, v10
	v_cndmask_b32_e64 v11, 0, 1, vcc_lo
	v_cmp_eq_u32_e32 vcc_lo, 3, v10
	v_cndmask_b32_e64 v10, 0, 1, vcc_lo
	v_cmp_ne_u32_e32 vcc_lo, 0, v3
	v_or_b32_e32 v10, v10, v11
	v_mov_b32_e32 v11, 0x7e00
	v_add_nc_u32_e32 v6, v6, v10
	v_cndmask_b32_e32 v3, 0x7c00, v11, vcc_lo
	v_cmp_gt_i32_e32 vcc_lo, 31, v7
	v_cndmask_b32_e32 v6, 0x7c00, v6, vcc_lo
	v_cmp_eq_u32_e32 vcc_lo, 0x40f, v7
	v_cndmask_b32_e32 v3, v6, v3, vcc_lo
	v_lshrrev_b32_e32 v6, 16, v5
	v_and_or_b32 v3, 0x8000, v6, v3
	global_store_short v[0:1], v3, off
.LBB8_1844:
	s_mov_b32 s2, 0
.LBB8_1845:
	s_andn2_b32 vcc_lo, exec_lo, s2
	s_cbranch_vccnz .LBB8_1861
; %bb.1846:
	s_cmp_lt_i32 s0, 2
	s_mov_b32 s2, -1
	s_cbranch_scc1 .LBB8_1856
; %bb.1847:
	s_cmp_lt_i32 s0, 3
	s_cbranch_scc1 .LBB8_1853
; %bb.1848:
	s_cmp_gt_i32 s0, 3
	s_cbranch_scc0 .LBB8_1850
; %bb.1849:
	v_trunc_f64_e32 v[6:7], v[4:5]
	s_mov_b32 s2, 0
	v_ldexp_f64 v[10:11], v[6:7], 0xffffffe0
	v_floor_f64_e32 v[10:11], v[10:11]
	v_fma_f64 v[6:7], 0xc1f00000, v[10:11], v[6:7]
	v_cvt_i32_f64_e32 v11, v[10:11]
	v_cvt_u32_f64_e32 v10, v[6:7]
	global_store_dwordx2 v[0:1], v[10:11], off
.LBB8_1850:
	s_andn2_b32 vcc_lo, exec_lo, s2
	s_cbranch_vccnz .LBB8_1852
; %bb.1851:
	v_cvt_i32_f64_e32 v3, v[4:5]
	global_store_dword v[0:1], v3, off
.LBB8_1852:
	s_mov_b32 s2, 0
.LBB8_1853:
	s_andn2_b32 vcc_lo, exec_lo, s2
	s_cbranch_vccnz .LBB8_1855
; %bb.1854:
	v_cvt_i32_f64_e32 v3, v[4:5]
	global_store_short v[0:1], v3, off
.LBB8_1855:
	s_mov_b32 s2, 0
.LBB8_1856:
	s_andn2_b32 vcc_lo, exec_lo, s2
	s_cbranch_vccnz .LBB8_1861
; %bb.1857:
	s_cmp_gt_i32 s0, 0
	s_mov_b32 s0, -1
	s_cbranch_scc0 .LBB8_1859
; %bb.1858:
	v_cvt_i32_f64_e32 v3, v[4:5]
	s_mov_b32 s0, 0
	global_store_byte v[0:1], v3, off
.LBB8_1859:
	s_andn2_b32 vcc_lo, exec_lo, s0
	s_cbranch_vccnz .LBB8_1861
; %bb.1860:
	v_trunc_f64_e32 v[3:4], v[4:5]
	v_ldexp_f64 v[5:6], v[3:4], 0xffffffe0
	v_floor_f64_e32 v[5:6], v[5:6]
	v_fma_f64 v[3:4], 0xc1f00000, v[5:6], v[3:4]
	v_cvt_u32_f64_e32 v3, v[3:4]
	global_store_byte v[0:1], v3, off
.LBB8_1861:
	s_mov_b32 s5, -1
.LBB8_1862:
	s_andn2_b32 vcc_lo, exec_lo, s5
	s_cbranch_vccnz .LBB8_2058
; %bb.1863:
	v_add_nc_u32_e32 v2, s1, v2
	s_cmp_lt_i32 s12, 11
	v_ashrrev_i32_e32 v1, 31, v2
	v_add_co_u32 v0, vcc_lo, s8, v2
	v_add_co_ci_u32_e64 v1, null, s9, v1, vcc_lo
	s_cbranch_scc1 .LBB8_1941
; %bb.1864:
	s_and_b32 s2, 0xffff, s12
	s_mov_b32 s10, -1
	s_mov_b32 s3, 0
	s_cmp_gt_i32 s2, 25
	s_mov_b32 s5, 0
	s_mov_b32 s0, 0
	s_cbranch_scc0 .LBB8_1897
; %bb.1865:
	s_cmp_gt_i32 s2, 28
	s_cbranch_scc0 .LBB8_1880
; %bb.1866:
	s_cmp_gt_i32 s2, 43
	;; [unrolled: 3-line block ×3, first 2 shown]
	s_cbranch_scc0 .LBB8_1870
; %bb.1868:
	s_mov_b32 s0, -1
	s_mov_b32 s10, 0
	s_cmp_eq_u32 s2, 46
	s_cbranch_scc0 .LBB8_1870
; %bb.1869:
	v_cvt_f32_f64_e32 v3, v[8:9]
	s_mov_b32 s0, 0
	s_mov_b32 s5, -1
	v_bfe_u32 v4, v3, 16, 1
	v_cmp_o_f32_e32 vcc_lo, v3, v3
	v_add3_u32 v3, v3, v4, 0x7fff
	v_mov_b32_e32 v4, 0x7fc0
	v_cndmask_b32_sdwa v3, v4, v3, vcc_lo dst_sel:DWORD dst_unused:UNUSED_PAD src0_sel:DWORD src1_sel:WORD_1
	global_store_dword v[0:1], v3, off
.LBB8_1870:
	s_and_b32 vcc_lo, exec_lo, s10
	s_cbranch_vccz .LBB8_1875
; %bb.1871:
	s_cmp_eq_u32 s2, 44
	s_mov_b32 s0, -1
	s_cbranch_scc0 .LBB8_1875
; %bb.1872:
	v_cvt_f32_f64_e32 v3, v[8:9]
	v_mov_b32_e32 v4, 0xff
	s_mov_b32 s5, exec_lo
	v_bfe_u32 v5, v3, 23, 8
	v_cmpx_ne_u32_e32 0xff, v5
	s_cbranch_execz .LBB8_1874
; %bb.1873:
	v_and_b32_e32 v4, 0x400000, v3
	v_and_or_b32 v5, 0x3fffff, v3, v5
	v_lshrrev_b32_e32 v3, 23, v3
	v_cmp_ne_u32_e32 vcc_lo, 0, v4
	v_cmp_ne_u32_e64 s0, 0, v5
	s_and_b32 s0, vcc_lo, s0
	v_cndmask_b32_e64 v4, 0, 1, s0
	v_add_nc_u32_e32 v4, v3, v4
.LBB8_1874:
	s_or_b32 exec_lo, exec_lo, s5
	s_mov_b32 s0, 0
	s_mov_b32 s5, -1
	global_store_byte v[0:1], v4, off
.LBB8_1875:
	s_mov_b32 s10, 0
.LBB8_1876:
	s_and_b32 vcc_lo, exec_lo, s10
	s_cbranch_vccz .LBB8_1879
; %bb.1877:
	s_cmp_eq_u32 s2, 29
	s_mov_b32 s0, -1
	s_cbranch_scc0 .LBB8_1879
; %bb.1878:
	v_trunc_f64_e32 v[3:4], v[8:9]
	s_mov_b32 s0, 0
	s_mov_b32 s5, -1
	v_ldexp_f64 v[5:6], v[3:4], 0xffffffe0
	v_floor_f64_e32 v[5:6], v[5:6]
	v_fma_f64 v[3:4], 0xc1f00000, v[5:6], v[3:4]
	v_cvt_u32_f64_e32 v5, v[5:6]
	v_cvt_u32_f64_e32 v4, v[3:4]
	global_store_dwordx2 v[0:1], v[4:5], off
.LBB8_1879:
	s_mov_b32 s10, 0
.LBB8_1880:
	s_and_b32 vcc_lo, exec_lo, s10
	s_cbranch_vccz .LBB8_1896
; %bb.1881:
	s_cmp_lt_i32 s2, 27
	s_mov_b32 s5, -1
	s_cbranch_scc1 .LBB8_1887
; %bb.1882:
	v_cvt_u32_f64_e32 v3, v[8:9]
	s_cmp_gt_i32 s2, 27
	s_cbranch_scc0 .LBB8_1884
; %bb.1883:
	s_mov_b32 s5, 0
	global_store_dword v[0:1], v3, off
.LBB8_1884:
	s_andn2_b32 vcc_lo, exec_lo, s5
	s_cbranch_vccnz .LBB8_1886
; %bb.1885:
	global_store_short v[0:1], v3, off
.LBB8_1886:
	s_mov_b32 s5, 0
.LBB8_1887:
	s_andn2_b32 vcc_lo, exec_lo, s5
	s_cbranch_vccnz .LBB8_1895
; %bb.1888:
	v_cvt_f32_f64_e32 v3, v[8:9]
	v_mov_b32_e32 v5, 0x80
	s_mov_b32 s5, exec_lo
	v_and_b32_e32 v4, 0x7fffffff, v3
	v_cmpx_gt_u32_e32 0x43800000, v4
	s_cbranch_execz .LBB8_1894
; %bb.1889:
	v_cmp_lt_u32_e32 vcc_lo, 0x3bffffff, v4
	s_mov_b32 s10, 0
                                        ; implicit-def: $vgpr4
	s_and_saveexec_b32 s11, vcc_lo
	s_xor_b32 s11, exec_lo, s11
	s_cbranch_execz .LBB8_2071
; %bb.1890:
	v_bfe_u32 v4, v3, 20, 1
	s_mov_b32 s10, exec_lo
	v_add3_u32 v4, v3, v4, 0x487ffff
	v_lshrrev_b32_e32 v4, 20, v4
	s_andn2_saveexec_b32 s11, s11
	s_cbranch_execnz .LBB8_2072
.LBB8_1891:
	s_or_b32 exec_lo, exec_lo, s11
	v_mov_b32_e32 v5, 0
	s_and_saveexec_b32 s11, s10
.LBB8_1892:
	v_lshrrev_b32_e32 v3, 24, v3
	v_and_or_b32 v5, 0x80, v3, v4
.LBB8_1893:
	s_or_b32 exec_lo, exec_lo, s11
.LBB8_1894:
	s_or_b32 exec_lo, exec_lo, s5
	global_store_byte v[0:1], v5, off
.LBB8_1895:
	s_mov_b32 s5, -1
.LBB8_1896:
	s_mov_b32 s10, 0
.LBB8_1897:
	s_and_b32 vcc_lo, exec_lo, s10
	s_cbranch_vccz .LBB8_1937
; %bb.1898:
	s_cmp_gt_i32 s2, 22
	s_mov_b32 s3, -1
	s_cbranch_scc0 .LBB8_1930
; %bb.1899:
	s_cmp_lt_i32 s2, 24
	s_cbranch_scc1 .LBB8_1919
; %bb.1900:
	s_cmp_gt_i32 s2, 24
	s_cbranch_scc0 .LBB8_1908
; %bb.1901:
	v_cvt_f32_f64_e32 v3, v[8:9]
	v_mov_b32_e32 v5, 0x80
	s_mov_b32 s3, exec_lo
	v_and_b32_e32 v4, 0x7fffffff, v3
	v_cmpx_gt_u32_e32 0x47800000, v4
	s_cbranch_execz .LBB8_1907
; %bb.1902:
	v_cmp_lt_u32_e32 vcc_lo, 0x37ffffff, v4
	s_mov_b32 s5, 0
                                        ; implicit-def: $vgpr4
	s_and_saveexec_b32 s10, vcc_lo
	s_xor_b32 s10, exec_lo, s10
	s_cbranch_execz .LBB8_2074
; %bb.1903:
	v_bfe_u32 v4, v3, 21, 1
	s_mov_b32 s5, exec_lo
	v_add3_u32 v4, v3, v4, 0x88fffff
	v_lshrrev_b32_e32 v4, 21, v4
	s_andn2_saveexec_b32 s10, s10
	s_cbranch_execnz .LBB8_2075
.LBB8_1904:
	s_or_b32 exec_lo, exec_lo, s10
	v_mov_b32_e32 v5, 0
	s_and_saveexec_b32 s10, s5
.LBB8_1905:
	v_lshrrev_b32_e32 v3, 24, v3
	v_and_or_b32 v5, 0x80, v3, v4
.LBB8_1906:
	s_or_b32 exec_lo, exec_lo, s10
.LBB8_1907:
	s_or_b32 exec_lo, exec_lo, s3
	s_mov_b32 s3, 0
	global_store_byte v[0:1], v5, off
.LBB8_1908:
	s_and_b32 vcc_lo, exec_lo, s3
	s_cbranch_vccz .LBB8_1918
; %bb.1909:
	v_cvt_f32_f64_e32 v3, v[8:9]
	s_mov_b32 s3, exec_lo
                                        ; implicit-def: $vgpr4
	v_and_b32_e32 v5, 0x7fffffff, v3
	v_cmpx_gt_u32_e32 0x43f00000, v5
	s_xor_b32 s3, exec_lo, s3
	s_cbranch_execz .LBB8_1915
; %bb.1910:
	s_mov_b32 s5, exec_lo
                                        ; implicit-def: $vgpr4
	v_cmpx_lt_u32_e32 0x3c7fffff, v5
	s_xor_b32 s5, exec_lo, s5
; %bb.1911:
	v_bfe_u32 v4, v3, 20, 1
	v_add3_u32 v4, v3, v4, 0x407ffff
	v_and_b32_e32 v5, 0xff00000, v4
	v_lshrrev_b32_e32 v4, 20, v4
	v_cmp_ne_u32_e32 vcc_lo, 0x7f00000, v5
	v_cndmask_b32_e32 v4, 0x7e, v4, vcc_lo
; %bb.1912:
	s_andn2_saveexec_b32 s5, s5
; %bb.1913:
	v_add_f32_e64 v4, 0x46800000, |v3|
; %bb.1914:
	s_or_b32 exec_lo, exec_lo, s5
                                        ; implicit-def: $vgpr5
.LBB8_1915:
	s_andn2_saveexec_b32 s3, s3
; %bb.1916:
	v_mov_b32_e32 v4, 0x7f
	v_cmp_lt_u32_e32 vcc_lo, 0x7f800000, v5
	v_cndmask_b32_e32 v4, 0x7e, v4, vcc_lo
; %bb.1917:
	s_or_b32 exec_lo, exec_lo, s3
	v_lshrrev_b32_e32 v3, 24, v3
	v_and_or_b32 v3, 0x80, v3, v4
	global_store_byte v[0:1], v3, off
.LBB8_1918:
	s_mov_b32 s3, 0
.LBB8_1919:
	s_andn2_b32 vcc_lo, exec_lo, s3
	s_cbranch_vccnz .LBB8_1929
; %bb.1920:
	v_cvt_f32_f64_e32 v3, v[8:9]
	s_mov_b32 s3, exec_lo
                                        ; implicit-def: $vgpr4
	v_and_b32_e32 v5, 0x7fffffff, v3
	v_cmpx_gt_u32_e32 0x47800000, v5
	s_xor_b32 s3, exec_lo, s3
	s_cbranch_execz .LBB8_1926
; %bb.1921:
	s_mov_b32 s5, exec_lo
                                        ; implicit-def: $vgpr4
	v_cmpx_lt_u32_e32 0x387fffff, v5
	s_xor_b32 s5, exec_lo, s5
; %bb.1922:
	v_bfe_u32 v4, v3, 21, 1
	v_add3_u32 v4, v3, v4, 0x80fffff
	v_lshrrev_b32_e32 v4, 21, v4
; %bb.1923:
	s_andn2_saveexec_b32 s5, s5
; %bb.1924:
	v_add_f32_e64 v4, 0x43000000, |v3|
; %bb.1925:
	s_or_b32 exec_lo, exec_lo, s5
                                        ; implicit-def: $vgpr5
.LBB8_1926:
	s_andn2_saveexec_b32 s3, s3
; %bb.1927:
	v_mov_b32_e32 v4, 0x7f
	v_cmp_lt_u32_e32 vcc_lo, 0x7f800000, v5
	v_cndmask_b32_e32 v4, 0x7c, v4, vcc_lo
; %bb.1928:
	s_or_b32 exec_lo, exec_lo, s3
	v_lshrrev_b32_e32 v3, 24, v3
	v_and_or_b32 v3, 0x80, v3, v4
	global_store_byte v[0:1], v3, off
.LBB8_1929:
	s_mov_b32 s3, 0
	s_mov_b32 s5, -1
.LBB8_1930:
	s_andn2_b32 vcc_lo, exec_lo, s3
	s_mov_b32 s3, 0
	s_cbranch_vccnz .LBB8_1937
; %bb.1931:
	s_cmp_gt_i32 s2, 14
	s_mov_b32 s3, -1
	s_cbranch_scc0 .LBB8_1935
; %bb.1932:
	s_cmp_eq_u32 s2, 15
	s_mov_b32 s0, -1
	s_cbranch_scc0 .LBB8_1934
; %bb.1933:
	v_cvt_f32_f64_e32 v3, v[8:9]
	s_mov_b32 s0, 0
	s_mov_b32 s5, -1
	v_bfe_u32 v4, v3, 16, 1
	v_cmp_o_f32_e32 vcc_lo, v3, v3
	v_add3_u32 v3, v3, v4, 0x7fff
	v_mov_b32_e32 v4, 0x7fc0
	v_cndmask_b32_sdwa v3, v4, v3, vcc_lo dst_sel:DWORD dst_unused:UNUSED_PAD src0_sel:DWORD src1_sel:WORD_1
	global_store_short v[0:1], v3, off
.LBB8_1934:
	s_mov_b32 s3, 0
.LBB8_1935:
	s_and_b32 vcc_lo, exec_lo, s3
	s_mov_b32 s3, 0
	s_cbranch_vccz .LBB8_1937
; %bb.1936:
	s_cmp_lg_u32 s2, 11
	s_mov_b32 s3, -1
	s_cselect_b32 s0, -1, 0
.LBB8_1937:
	s_and_b32 vcc_lo, exec_lo, s0
	s_cbranch_vccnz .LBB8_2073
; %bb.1938:
	s_andn2_b32 vcc_lo, exec_lo, s3
	s_cbranch_vccnz .LBB8_1940
.LBB8_1939:
	v_cmp_neq_f64_e32 vcc_lo, 0, v[8:9]
	s_mov_b32 s5, -1
	v_cndmask_b32_e64 v3, 0, 1, vcc_lo
	global_store_byte v[0:1], v3, off
.LBB8_1940:
	s_mov_b32 s0, 0
	s_branch .LBB8_1942
.LBB8_1941:
	s_mov_b32 s0, -1
	s_mov_b32 s5, 0
.LBB8_1942:
	s_and_b32 vcc_lo, exec_lo, s0
	s_cbranch_vccz .LBB8_1981
; %bb.1943:
	s_and_b32 s0, 0xffff, s12
	s_mov_b32 s2, -1
	s_cmp_lt_i32 s0, 5
	s_cbranch_scc1 .LBB8_1964
; %bb.1944:
	s_cmp_lt_i32 s0, 8
	s_cbranch_scc1 .LBB8_1954
; %bb.1945:
	;; [unrolled: 3-line block ×3, first 2 shown]
	s_cmp_gt_i32 s0, 9
	s_cbranch_scc0 .LBB8_1948
; %bb.1947:
	v_mov_b32_e32 v10, 0
	s_mov_b32 s2, 0
	v_mov_b32_e32 v11, v10
	global_store_dwordx4 v[0:1], v[8:11], off
.LBB8_1948:
	s_andn2_b32 vcc_lo, exec_lo, s2
	s_cbranch_vccnz .LBB8_1950
; %bb.1949:
	v_cvt_f32_f64_e32 v3, v[8:9]
	v_mov_b32_e32 v4, 0
	global_store_dwordx2 v[0:1], v[3:4], off
.LBB8_1950:
	s_mov_b32 s2, 0
.LBB8_1951:
	s_andn2_b32 vcc_lo, exec_lo, s2
	s_cbranch_vccnz .LBB8_1953
; %bb.1952:
	v_and_or_b32 v3, 0x1ff, v9, v8
	v_lshrrev_b32_e32 v4, 8, v9
	v_bfe_u32 v5, v9, 20, 11
	v_cmp_ne_u32_e32 vcc_lo, 0, v3
	v_sub_nc_u32_e32 v6, 0x3f1, v5
	v_add_nc_u32_e32 v5, 0xfffffc10, v5
	v_cndmask_b32_e64 v3, 0, 1, vcc_lo
	v_and_or_b32 v3, 0xffe, v4, v3
	v_med3_i32 v4, v6, 0, 13
	v_or_b32_e32 v6, 0x1000, v3
	v_lshrrev_b32_e32 v7, v4, v6
	v_lshlrev_b32_e32 v4, v4, v7
	v_cmp_ne_u32_e32 vcc_lo, v4, v6
	v_lshl_or_b32 v6, v5, 12, v3
	v_cndmask_b32_e64 v4, 0, 1, vcc_lo
	v_cmp_gt_i32_e32 vcc_lo, 1, v5
	v_or_b32_e32 v4, v7, v4
	v_cndmask_b32_e32 v4, v6, v4, vcc_lo
	v_and_b32_e32 v6, 7, v4
	v_lshrrev_b32_e32 v4, 2, v4
	v_cmp_lt_i32_e32 vcc_lo, 5, v6
	v_cndmask_b32_e64 v7, 0, 1, vcc_lo
	v_cmp_eq_u32_e32 vcc_lo, 3, v6
	v_cndmask_b32_e64 v6, 0, 1, vcc_lo
	v_cmp_ne_u32_e32 vcc_lo, 0, v3
	v_or_b32_e32 v6, v6, v7
	v_mov_b32_e32 v7, 0x7e00
	v_add_nc_u32_e32 v4, v4, v6
	v_cndmask_b32_e32 v3, 0x7c00, v7, vcc_lo
	v_cmp_gt_i32_e32 vcc_lo, 31, v5
	v_cndmask_b32_e32 v4, 0x7c00, v4, vcc_lo
	v_cmp_eq_u32_e32 vcc_lo, 0x40f, v5
	v_cndmask_b32_e32 v3, v4, v3, vcc_lo
	v_lshrrev_b32_e32 v4, 16, v9
	v_and_or_b32 v3, 0x8000, v4, v3
	v_and_b32_e32 v3, 0xffff, v3
	global_store_dword v[0:1], v3, off
.LBB8_1953:
	s_mov_b32 s2, 0
.LBB8_1954:
	s_andn2_b32 vcc_lo, exec_lo, s2
	s_cbranch_vccnz .LBB8_1963
; %bb.1955:
	s_cmp_lt_i32 s0, 6
	s_mov_b32 s2, -1
	s_cbranch_scc1 .LBB8_1961
; %bb.1956:
	s_cmp_gt_i32 s0, 6
	s_cbranch_scc0 .LBB8_1958
; %bb.1957:
	s_mov_b32 s2, 0
	global_store_dwordx2 v[0:1], v[8:9], off
.LBB8_1958:
	s_andn2_b32 vcc_lo, exec_lo, s2
	s_cbranch_vccnz .LBB8_1960
; %bb.1959:
	v_cvt_f32_f64_e32 v3, v[8:9]
	global_store_dword v[0:1], v3, off
.LBB8_1960:
	s_mov_b32 s2, 0
.LBB8_1961:
	s_andn2_b32 vcc_lo, exec_lo, s2
	s_cbranch_vccnz .LBB8_1963
; %bb.1962:
	v_and_or_b32 v3, 0x1ff, v9, v8
	v_lshrrev_b32_e32 v4, 8, v9
	v_bfe_u32 v5, v9, 20, 11
	v_cmp_ne_u32_e32 vcc_lo, 0, v3
	v_sub_nc_u32_e32 v6, 0x3f1, v5
	v_add_nc_u32_e32 v5, 0xfffffc10, v5
	v_cndmask_b32_e64 v3, 0, 1, vcc_lo
	v_and_or_b32 v3, 0xffe, v4, v3
	v_med3_i32 v4, v6, 0, 13
	v_or_b32_e32 v6, 0x1000, v3
	v_lshrrev_b32_e32 v7, v4, v6
	v_lshlrev_b32_e32 v4, v4, v7
	v_cmp_ne_u32_e32 vcc_lo, v4, v6
	v_lshl_or_b32 v6, v5, 12, v3
	v_cndmask_b32_e64 v4, 0, 1, vcc_lo
	v_cmp_gt_i32_e32 vcc_lo, 1, v5
	v_or_b32_e32 v4, v7, v4
	v_cndmask_b32_e32 v4, v6, v4, vcc_lo
	v_and_b32_e32 v6, 7, v4
	v_lshrrev_b32_e32 v4, 2, v4
	v_cmp_lt_i32_e32 vcc_lo, 5, v6
	v_cndmask_b32_e64 v7, 0, 1, vcc_lo
	v_cmp_eq_u32_e32 vcc_lo, 3, v6
	v_cndmask_b32_e64 v6, 0, 1, vcc_lo
	v_cmp_ne_u32_e32 vcc_lo, 0, v3
	v_or_b32_e32 v6, v6, v7
	v_mov_b32_e32 v7, 0x7e00
	v_add_nc_u32_e32 v4, v4, v6
	v_cndmask_b32_e32 v3, 0x7c00, v7, vcc_lo
	v_cmp_gt_i32_e32 vcc_lo, 31, v5
	v_cndmask_b32_e32 v4, 0x7c00, v4, vcc_lo
	v_cmp_eq_u32_e32 vcc_lo, 0x40f, v5
	v_cndmask_b32_e32 v3, v4, v3, vcc_lo
	v_lshrrev_b32_e32 v4, 16, v9
	v_and_or_b32 v3, 0x8000, v4, v3
	global_store_short v[0:1], v3, off
.LBB8_1963:
	s_mov_b32 s2, 0
.LBB8_1964:
	s_andn2_b32 vcc_lo, exec_lo, s2
	s_cbranch_vccnz .LBB8_1980
; %bb.1965:
	s_cmp_lt_i32 s0, 2
	s_mov_b32 s2, -1
	s_cbranch_scc1 .LBB8_1975
; %bb.1966:
	s_cmp_lt_i32 s0, 3
	s_cbranch_scc1 .LBB8_1972
; %bb.1967:
	s_cmp_gt_i32 s0, 3
	s_cbranch_scc0 .LBB8_1969
; %bb.1968:
	v_trunc_f64_e32 v[3:4], v[8:9]
	s_mov_b32 s2, 0
	v_ldexp_f64 v[5:6], v[3:4], 0xffffffe0
	v_floor_f64_e32 v[5:6], v[5:6]
	v_fma_f64 v[3:4], 0xc1f00000, v[5:6], v[3:4]
	v_cvt_i32_f64_e32 v5, v[5:6]
	v_cvt_u32_f64_e32 v4, v[3:4]
	global_store_dwordx2 v[0:1], v[4:5], off
.LBB8_1969:
	s_andn2_b32 vcc_lo, exec_lo, s2
	s_cbranch_vccnz .LBB8_1971
; %bb.1970:
	v_cvt_i32_f64_e32 v3, v[8:9]
	global_store_dword v[0:1], v3, off
.LBB8_1971:
	s_mov_b32 s2, 0
.LBB8_1972:
	s_andn2_b32 vcc_lo, exec_lo, s2
	s_cbranch_vccnz .LBB8_1974
; %bb.1973:
	v_cvt_i32_f64_e32 v3, v[8:9]
	global_store_short v[0:1], v3, off
.LBB8_1974:
	s_mov_b32 s2, 0
.LBB8_1975:
	s_andn2_b32 vcc_lo, exec_lo, s2
	s_cbranch_vccnz .LBB8_1980
; %bb.1976:
	s_cmp_gt_i32 s0, 0
	s_mov_b32 s0, -1
	s_cbranch_scc0 .LBB8_1978
; %bb.1977:
	v_cvt_i32_f64_e32 v3, v[8:9]
	s_mov_b32 s0, 0
	global_store_byte v[0:1], v3, off
.LBB8_1978:
	s_andn2_b32 vcc_lo, exec_lo, s0
	s_cbranch_vccnz .LBB8_1980
; %bb.1979:
	v_trunc_f64_e32 v[3:4], v[8:9]
	v_ldexp_f64 v[5:6], v[3:4], 0xffffffe0
	v_floor_f64_e32 v[5:6], v[5:6]
	v_fma_f64 v[3:4], 0xc1f00000, v[5:6], v[3:4]
	v_cvt_u32_f64_e32 v3, v[3:4]
	global_store_byte v[0:1], v3, off
.LBB8_1980:
	s_mov_b32 s5, -1
.LBB8_1981:
	s_andn2_b32 vcc_lo, exec_lo, s5
	s_cbranch_vccnz .LBB8_2058
; %bb.1982:
	v_add_nc_u32_e32 v0, s1, v2
	s_cmp_lt_i32 s12, 11
	v_ashrrev_i32_e32 v1, 31, v0
	v_add_co_u32 v0, vcc_lo, s8, v0
	v_add_co_ci_u32_e64 v1, null, s9, v1, vcc_lo
	s_cbranch_scc1 .LBB8_2059
; %bb.1983:
	s_and_b32 s1, 0xffff, s12
	s_mov_b32 s3, -1
	s_mov_b32 s2, 0
	s_cmp_gt_i32 s1, 25
	s_mov_b32 s0, 0
	s_cbranch_scc0 .LBB8_2016
; %bb.1984:
	s_cmp_gt_i32 s1, 28
	s_cbranch_scc0 .LBB8_2000
; %bb.1985:
	s_cmp_gt_i32 s1, 43
	;; [unrolled: 3-line block ×3, first 2 shown]
	s_cbranch_scc0 .LBB8_1990
; %bb.1987:
	s_cmp_eq_u32 s1, 46
	s_mov_b32 s0, -1
	s_cbranch_scc0 .LBB8_1989
; %bb.1988:
	v_cvt_f32_f64_e32 v2, v[12:13]
	s_mov_b32 s0, 0
	v_bfe_u32 v3, v2, 16, 1
	v_cmp_o_f32_e32 vcc_lo, v2, v2
	v_add3_u32 v2, v2, v3, 0x7fff
	v_mov_b32_e32 v3, 0x7fc0
	v_cndmask_b32_sdwa v2, v3, v2, vcc_lo dst_sel:DWORD dst_unused:UNUSED_PAD src0_sel:DWORD src1_sel:WORD_1
	global_store_dword v[0:1], v2, off
.LBB8_1989:
	s_mov_b32 s3, 0
.LBB8_1990:
	s_and_b32 vcc_lo, exec_lo, s3
	s_cbranch_vccz .LBB8_1995
; %bb.1991:
	s_cmp_eq_u32 s1, 44
	s_mov_b32 s0, -1
	s_cbranch_scc0 .LBB8_1995
; %bb.1992:
	v_cvt_f32_f64_e32 v2, v[12:13]
	v_mov_b32_e32 v3, 0xff
	s_mov_b32 s3, exec_lo
	v_bfe_u32 v4, v2, 23, 8
	v_cmpx_ne_u32_e32 0xff, v4
	s_cbranch_execz .LBB8_1994
; %bb.1993:
	v_and_b32_e32 v3, 0x400000, v2
	v_and_or_b32 v4, 0x3fffff, v2, v4
	v_lshrrev_b32_e32 v2, 23, v2
	v_cmp_ne_u32_e32 vcc_lo, 0, v3
	v_cmp_ne_u32_e64 s0, 0, v4
	s_and_b32 s0, vcc_lo, s0
	v_cndmask_b32_e64 v3, 0, 1, s0
	v_add_nc_u32_e32 v3, v2, v3
.LBB8_1994:
	s_or_b32 exec_lo, exec_lo, s3
	s_mov_b32 s0, 0
	global_store_byte v[0:1], v3, off
.LBB8_1995:
	s_mov_b32 s3, 0
.LBB8_1996:
	s_and_b32 vcc_lo, exec_lo, s3
	s_cbranch_vccz .LBB8_1999
; %bb.1997:
	s_cmp_eq_u32 s1, 29
	s_mov_b32 s0, -1
	s_cbranch_scc0 .LBB8_1999
; %bb.1998:
	v_trunc_f64_e32 v[2:3], v[12:13]
	s_mov_b32 s0, 0
	v_ldexp_f64 v[4:5], v[2:3], 0xffffffe0
	v_floor_f64_e32 v[4:5], v[4:5]
	v_fma_f64 v[2:3], 0xc1f00000, v[4:5], v[2:3]
	v_cvt_u32_f64_e32 v4, v[4:5]
	v_cvt_u32_f64_e32 v3, v[2:3]
	global_store_dwordx2 v[0:1], v[3:4], off
.LBB8_1999:
	s_mov_b32 s3, 0
.LBB8_2000:
	s_and_b32 vcc_lo, exec_lo, s3
	s_cbranch_vccz .LBB8_2015
; %bb.2001:
	s_cmp_lt_i32 s1, 27
	s_mov_b32 s3, -1
	s_cbranch_scc1 .LBB8_2007
; %bb.2002:
	v_cvt_u32_f64_e32 v2, v[12:13]
	s_cmp_gt_i32 s1, 27
	s_cbranch_scc0 .LBB8_2004
; %bb.2003:
	s_mov_b32 s3, 0
	global_store_dword v[0:1], v2, off
.LBB8_2004:
	s_andn2_b32 vcc_lo, exec_lo, s3
	s_cbranch_vccnz .LBB8_2006
; %bb.2005:
	global_store_short v[0:1], v2, off
.LBB8_2006:
	s_mov_b32 s3, 0
.LBB8_2007:
	s_andn2_b32 vcc_lo, exec_lo, s3
	s_cbranch_vccnz .LBB8_2015
; %bb.2008:
	v_cvt_f32_f64_e32 v2, v[12:13]
	v_mov_b32_e32 v4, 0x80
	s_mov_b32 s3, exec_lo
	v_and_b32_e32 v3, 0x7fffffff, v2
	v_cmpx_gt_u32_e32 0x43800000, v3
	s_cbranch_execz .LBB8_2014
; %bb.2009:
	v_cmp_lt_u32_e32 vcc_lo, 0x3bffffff, v3
	s_mov_b32 s5, 0
                                        ; implicit-def: $vgpr3
	s_and_saveexec_b32 s8, vcc_lo
	s_xor_b32 s8, exec_lo, s8
	s_cbranch_execz .LBB8_2076
; %bb.2010:
	v_bfe_u32 v3, v2, 20, 1
	s_mov_b32 s5, exec_lo
	v_add3_u32 v3, v2, v3, 0x487ffff
	v_lshrrev_b32_e32 v3, 20, v3
	s_andn2_saveexec_b32 s8, s8
	s_cbranch_execnz .LBB8_2077
.LBB8_2011:
	s_or_b32 exec_lo, exec_lo, s8
	v_mov_b32_e32 v4, 0
	s_and_saveexec_b32 s8, s5
.LBB8_2012:
	v_lshrrev_b32_e32 v2, 24, v2
	v_and_or_b32 v4, 0x80, v2, v3
.LBB8_2013:
	s_or_b32 exec_lo, exec_lo, s8
.LBB8_2014:
	s_or_b32 exec_lo, exec_lo, s3
	global_store_byte v[0:1], v4, off
.LBB8_2015:
	s_mov_b32 s3, 0
.LBB8_2016:
	s_and_b32 vcc_lo, exec_lo, s3
	s_cbranch_vccz .LBB8_2056
; %bb.2017:
	s_cmp_gt_i32 s1, 22
	s_mov_b32 s2, -1
	s_cbranch_scc0 .LBB8_2049
; %bb.2018:
	s_cmp_lt_i32 s1, 24
	s_cbranch_scc1 .LBB8_2038
; %bb.2019:
	s_cmp_gt_i32 s1, 24
	s_cbranch_scc0 .LBB8_2027
; %bb.2020:
	v_cvt_f32_f64_e32 v2, v[12:13]
	v_mov_b32_e32 v4, 0x80
	s_mov_b32 s2, exec_lo
	v_and_b32_e32 v3, 0x7fffffff, v2
	v_cmpx_gt_u32_e32 0x47800000, v3
	s_cbranch_execz .LBB8_2026
; %bb.2021:
	v_cmp_lt_u32_e32 vcc_lo, 0x37ffffff, v3
	s_mov_b32 s3, 0
                                        ; implicit-def: $vgpr3
	s_and_saveexec_b32 s5, vcc_lo
	s_xor_b32 s5, exec_lo, s5
	s_cbranch_execz .LBB8_2079
; %bb.2022:
	v_bfe_u32 v3, v2, 21, 1
	s_mov_b32 s3, exec_lo
	v_add3_u32 v3, v2, v3, 0x88fffff
	v_lshrrev_b32_e32 v3, 21, v3
	s_andn2_saveexec_b32 s5, s5
	s_cbranch_execnz .LBB8_2080
.LBB8_2023:
	s_or_b32 exec_lo, exec_lo, s5
	v_mov_b32_e32 v4, 0
	s_and_saveexec_b32 s5, s3
.LBB8_2024:
	v_lshrrev_b32_e32 v2, 24, v2
	v_and_or_b32 v4, 0x80, v2, v3
.LBB8_2025:
	s_or_b32 exec_lo, exec_lo, s5
.LBB8_2026:
	s_or_b32 exec_lo, exec_lo, s2
	s_mov_b32 s2, 0
	global_store_byte v[0:1], v4, off
.LBB8_2027:
	s_and_b32 vcc_lo, exec_lo, s2
	s_cbranch_vccz .LBB8_2037
; %bb.2028:
	v_cvt_f32_f64_e32 v2, v[12:13]
	s_mov_b32 s2, exec_lo
                                        ; implicit-def: $vgpr3
	v_and_b32_e32 v4, 0x7fffffff, v2
	v_cmpx_gt_u32_e32 0x43f00000, v4
	s_xor_b32 s2, exec_lo, s2
	s_cbranch_execz .LBB8_2034
; %bb.2029:
	s_mov_b32 s3, exec_lo
                                        ; implicit-def: $vgpr3
	v_cmpx_lt_u32_e32 0x3c7fffff, v4
	s_xor_b32 s3, exec_lo, s3
; %bb.2030:
	v_bfe_u32 v3, v2, 20, 1
	v_add3_u32 v3, v2, v3, 0x407ffff
	v_and_b32_e32 v4, 0xff00000, v3
	v_lshrrev_b32_e32 v3, 20, v3
	v_cmp_ne_u32_e32 vcc_lo, 0x7f00000, v4
	v_cndmask_b32_e32 v3, 0x7e, v3, vcc_lo
; %bb.2031:
	s_andn2_saveexec_b32 s3, s3
; %bb.2032:
	v_add_f32_e64 v3, 0x46800000, |v2|
; %bb.2033:
	s_or_b32 exec_lo, exec_lo, s3
                                        ; implicit-def: $vgpr4
.LBB8_2034:
	s_andn2_saveexec_b32 s2, s2
; %bb.2035:
	v_mov_b32_e32 v3, 0x7f
	v_cmp_lt_u32_e32 vcc_lo, 0x7f800000, v4
	v_cndmask_b32_e32 v3, 0x7e, v3, vcc_lo
; %bb.2036:
	s_or_b32 exec_lo, exec_lo, s2
	v_lshrrev_b32_e32 v2, 24, v2
	v_and_or_b32 v2, 0x80, v2, v3
	global_store_byte v[0:1], v2, off
.LBB8_2037:
	s_mov_b32 s2, 0
.LBB8_2038:
	s_andn2_b32 vcc_lo, exec_lo, s2
	s_cbranch_vccnz .LBB8_2048
; %bb.2039:
	v_cvt_f32_f64_e32 v2, v[12:13]
	s_mov_b32 s2, exec_lo
                                        ; implicit-def: $vgpr3
	v_and_b32_e32 v4, 0x7fffffff, v2
	v_cmpx_gt_u32_e32 0x47800000, v4
	s_xor_b32 s2, exec_lo, s2
	s_cbranch_execz .LBB8_2045
; %bb.2040:
	s_mov_b32 s3, exec_lo
                                        ; implicit-def: $vgpr3
	v_cmpx_lt_u32_e32 0x387fffff, v4
	s_xor_b32 s3, exec_lo, s3
; %bb.2041:
	v_bfe_u32 v3, v2, 21, 1
	v_add3_u32 v3, v2, v3, 0x80fffff
	v_lshrrev_b32_e32 v3, 21, v3
; %bb.2042:
	s_andn2_saveexec_b32 s3, s3
; %bb.2043:
	v_add_f32_e64 v3, 0x43000000, |v2|
; %bb.2044:
	s_or_b32 exec_lo, exec_lo, s3
                                        ; implicit-def: $vgpr4
.LBB8_2045:
	s_andn2_saveexec_b32 s2, s2
; %bb.2046:
	v_mov_b32_e32 v3, 0x7f
	v_cmp_lt_u32_e32 vcc_lo, 0x7f800000, v4
	v_cndmask_b32_e32 v3, 0x7c, v3, vcc_lo
; %bb.2047:
	s_or_b32 exec_lo, exec_lo, s2
	v_lshrrev_b32_e32 v2, 24, v2
	v_and_or_b32 v2, 0x80, v2, v3
	global_store_byte v[0:1], v2, off
.LBB8_2048:
	s_mov_b32 s2, 0
.LBB8_2049:
	s_andn2_b32 vcc_lo, exec_lo, s2
	s_mov_b32 s2, 0
	s_cbranch_vccnz .LBB8_2056
; %bb.2050:
	s_cmp_gt_i32 s1, 14
	s_mov_b32 s2, -1
	s_cbranch_scc0 .LBB8_2054
; %bb.2051:
	s_cmp_eq_u32 s1, 15
	s_mov_b32 s0, -1
	s_cbranch_scc0 .LBB8_2053
; %bb.2052:
	v_cvt_f32_f64_e32 v2, v[12:13]
	s_mov_b32 s0, 0
	v_bfe_u32 v3, v2, 16, 1
	v_cmp_o_f32_e32 vcc_lo, v2, v2
	v_add3_u32 v2, v2, v3, 0x7fff
	v_mov_b32_e32 v3, 0x7fc0
	v_cndmask_b32_sdwa v2, v3, v2, vcc_lo dst_sel:DWORD dst_unused:UNUSED_PAD src0_sel:DWORD src1_sel:WORD_1
	global_store_short v[0:1], v2, off
.LBB8_2053:
	s_mov_b32 s2, 0
.LBB8_2054:
	s_and_b32 vcc_lo, exec_lo, s2
	s_mov_b32 s2, 0
	s_cbranch_vccz .LBB8_2056
; %bb.2055:
	s_cmp_lg_u32 s1, 11
	s_mov_b32 s2, -1
	s_cselect_b32 s0, -1, 0
.LBB8_2056:
	s_and_b32 vcc_lo, exec_lo, s0
	s_cbranch_vccnz .LBB8_2078
.LBB8_2057:
	s_mov_b32 s0, 0
	s_branch .LBB8_1659
.LBB8_2058:
	s_mov_b32 s0, 0
	s_mov_b32 s2, 0
                                        ; implicit-def: $sgpr12
                                        ; implicit-def: $vgpr0_vgpr1
	s_branch .LBB8_1659
.LBB8_2059:
	s_mov_b32 s2, 0
	s_mov_b32 s0, -1
	s_branch .LBB8_1659
.LBB8_2060:
	s_or_b32 s4, s4, exec_lo
	s_trap 2
	s_cbranch_execz .LBB8_1524
	s_branch .LBB8_1525
.LBB8_2061:
	s_andn2_saveexec_b32 s11, s11
	s_cbranch_execz .LBB8_1608
.LBB8_2062:
	v_add_f32_e64 v3, 0x46000000, |v2|
	s_andn2_b32 s10, s10, exec_lo
	v_and_b32_e32 v3, 0xff, v3
	v_cmp_ne_u32_e32 vcc_lo, 0, v3
	s_and_b32 s13, vcc_lo, exec_lo
	s_or_b32 s10, s10, s13
	s_or_b32 exec_lo, exec_lo, s11
	v_mov_b32_e32 v11, 0
	s_and_saveexec_b32 s11, s10
	s_cbranch_execnz .LBB8_1609
	s_branch .LBB8_1610
.LBB8_2063:
	s_or_b32 s4, s4, exec_lo
	s_trap 2
	s_cbranch_execz .LBB8_1656
	s_branch .LBB8_1657
.LBB8_2064:
	s_andn2_saveexec_b32 s10, s10
	s_cbranch_execz .LBB8_1621
.LBB8_2065:
	v_add_f32_e64 v3, 0x42800000, |v2|
	s_andn2_b32 s5, s5, exec_lo
	v_and_b32_e32 v3, 0xff, v3
	v_cmp_ne_u32_e32 vcc_lo, 0, v3
	s_and_b32 s11, vcc_lo, exec_lo
	s_or_b32 s5, s5, s11
	s_or_b32 exec_lo, exec_lo, s10
	v_mov_b32_e32 v11, 0
	s_and_saveexec_b32 s10, s5
	s_cbranch_execnz .LBB8_1622
	s_branch .LBB8_1623
.LBB8_2066:
	s_andn2_saveexec_b32 s11, s11
	s_cbranch_execz .LBB8_1772
.LBB8_2067:
	v_add_f32_e64 v6, 0x46000000, |v3|
	s_andn2_b32 s10, s10, exec_lo
	v_and_b32_e32 v6, 0xff, v6
	v_cmp_ne_u32_e32 vcc_lo, 0, v6
	s_and_b32 s13, vcc_lo, exec_lo
	s_or_b32 s10, s10, s13
	s_or_b32 exec_lo, exec_lo, s11
	v_mov_b32_e32 v7, 0
	s_and_saveexec_b32 s11, s10
	s_cbranch_execnz .LBB8_1773
	s_branch .LBB8_1774
.LBB8_2068:
	s_or_b32 s4, s4, exec_lo
	s_trap 2
	s_cbranch_execz .LBB8_1820
	s_branch .LBB8_1821
.LBB8_2069:
	s_andn2_saveexec_b32 s10, s10
	s_cbranch_execz .LBB8_1785
.LBB8_2070:
	v_add_f32_e64 v6, 0x42800000, |v3|
	s_andn2_b32 s5, s5, exec_lo
	v_and_b32_e32 v6, 0xff, v6
	v_cmp_ne_u32_e32 vcc_lo, 0, v6
	s_and_b32 s11, vcc_lo, exec_lo
	s_or_b32 s5, s5, s11
	s_or_b32 exec_lo, exec_lo, s10
	v_mov_b32_e32 v7, 0
	s_and_saveexec_b32 s10, s5
	s_cbranch_execnz .LBB8_1786
	s_branch .LBB8_1787
.LBB8_2071:
	s_andn2_saveexec_b32 s11, s11
	s_cbranch_execz .LBB8_1891
.LBB8_2072:
	v_add_f32_e64 v4, 0x46000000, |v3|
	s_andn2_b32 s10, s10, exec_lo
	v_and_b32_e32 v4, 0xff, v4
	v_cmp_ne_u32_e32 vcc_lo, 0, v4
	s_and_b32 s13, vcc_lo, exec_lo
	s_or_b32 s10, s10, s13
	s_or_b32 exec_lo, exec_lo, s11
	v_mov_b32_e32 v5, 0
	s_and_saveexec_b32 s11, s10
	s_cbranch_execnz .LBB8_1892
	s_branch .LBB8_1893
.LBB8_2073:
	s_or_b32 s4, s4, exec_lo
	s_trap 2
	s_cbranch_execz .LBB8_1939
	s_branch .LBB8_1940
.LBB8_2074:
	s_andn2_saveexec_b32 s10, s10
	s_cbranch_execz .LBB8_1904
.LBB8_2075:
	v_add_f32_e64 v4, 0x42800000, |v3|
	s_andn2_b32 s5, s5, exec_lo
	v_and_b32_e32 v4, 0xff, v4
	v_cmp_ne_u32_e32 vcc_lo, 0, v4
	s_and_b32 s11, vcc_lo, exec_lo
	s_or_b32 s5, s5, s11
	s_or_b32 exec_lo, exec_lo, s10
	v_mov_b32_e32 v5, 0
	s_and_saveexec_b32 s10, s5
	s_cbranch_execnz .LBB8_1905
	s_branch .LBB8_1906
.LBB8_2076:
	s_andn2_saveexec_b32 s8, s8
	s_cbranch_execz .LBB8_2011
.LBB8_2077:
	v_add_f32_e64 v3, 0x46000000, |v2|
	s_andn2_b32 s5, s5, exec_lo
	v_and_b32_e32 v3, 0xff, v3
	v_cmp_ne_u32_e32 vcc_lo, 0, v3
	s_and_b32 s9, vcc_lo, exec_lo
	s_or_b32 s5, s5, s9
	s_or_b32 exec_lo, exec_lo, s8
	v_mov_b32_e32 v4, 0
	s_and_saveexec_b32 s8, s5
	s_cbranch_execnz .LBB8_2012
	s_branch .LBB8_2013
.LBB8_2078:
	s_mov_b32 s2, 0
	s_or_b32 s4, s4, exec_lo
	s_trap 2
	s_branch .LBB8_2057
.LBB8_2079:
	s_andn2_saveexec_b32 s5, s5
	s_cbranch_execz .LBB8_2023
.LBB8_2080:
	v_add_f32_e64 v3, 0x42800000, |v2|
	s_andn2_b32 s3, s3, exec_lo
	v_and_b32_e32 v3, 0xff, v3
	v_cmp_ne_u32_e32 vcc_lo, 0, v3
	s_and_b32 s8, vcc_lo, exec_lo
	s_or_b32 s3, s3, s8
	s_or_b32 exec_lo, exec_lo, s5
	v_mov_b32_e32 v4, 0
	s_and_saveexec_b32 s5, s3
	s_cbranch_execnz .LBB8_2024
	s_branch .LBB8_2025
	.section	.rodata,"a",@progbits
	.p2align	6, 0x0
	.amdhsa_kernel _ZN2at6native32elementwise_kernel_manual_unrollILi128ELi4EZNS0_15gpu_kernel_implIZZZNS0_12_GLOBAL__N_130modified_bessel_i0_kernel_cudaERNS_18TensorIteratorBaseEENKUlvE_clEvENKUlvE_clEvEUldE_EEvS5_RKT_EUlibE_EEviT1_
		.amdhsa_group_segment_fixed_size 0
		.amdhsa_private_segment_fixed_size 0
		.amdhsa_kernarg_size 40
		.amdhsa_user_sgpr_count 6
		.amdhsa_user_sgpr_private_segment_buffer 1
		.amdhsa_user_sgpr_dispatch_ptr 0
		.amdhsa_user_sgpr_queue_ptr 0
		.amdhsa_user_sgpr_kernarg_segment_ptr 1
		.amdhsa_user_sgpr_dispatch_id 0
		.amdhsa_user_sgpr_flat_scratch_init 0
		.amdhsa_user_sgpr_private_segment_size 0
		.amdhsa_wavefront_size32 1
		.amdhsa_uses_dynamic_stack 0
		.amdhsa_system_sgpr_private_segment_wavefront_offset 0
		.amdhsa_system_sgpr_workgroup_id_x 1
		.amdhsa_system_sgpr_workgroup_id_y 0
		.amdhsa_system_sgpr_workgroup_id_z 0
		.amdhsa_system_sgpr_workgroup_info 0
		.amdhsa_system_vgpr_workitem_id 0
		.amdhsa_next_free_vgpr 29
		.amdhsa_next_free_sgpr 26
		.amdhsa_reserve_vcc 1
		.amdhsa_reserve_flat_scratch 0
		.amdhsa_float_round_mode_32 0
		.amdhsa_float_round_mode_16_64 0
		.amdhsa_float_denorm_mode_32 3
		.amdhsa_float_denorm_mode_16_64 3
		.amdhsa_dx10_clamp 1
		.amdhsa_ieee_mode 1
		.amdhsa_fp16_overflow 0
		.amdhsa_workgroup_processor_mode 1
		.amdhsa_memory_ordered 1
		.amdhsa_forward_progress 1
		.amdhsa_shared_vgpr_count 0
		.amdhsa_exception_fp_ieee_invalid_op 0
		.amdhsa_exception_fp_denorm_src 0
		.amdhsa_exception_fp_ieee_div_zero 0
		.amdhsa_exception_fp_ieee_overflow 0
		.amdhsa_exception_fp_ieee_underflow 0
		.amdhsa_exception_fp_ieee_inexact 0
		.amdhsa_exception_int_div_zero 0
	.end_amdhsa_kernel
	.section	.text._ZN2at6native32elementwise_kernel_manual_unrollILi128ELi4EZNS0_15gpu_kernel_implIZZZNS0_12_GLOBAL__N_130modified_bessel_i0_kernel_cudaERNS_18TensorIteratorBaseEENKUlvE_clEvENKUlvE_clEvEUldE_EEvS5_RKT_EUlibE_EEviT1_,"axG",@progbits,_ZN2at6native32elementwise_kernel_manual_unrollILi128ELi4EZNS0_15gpu_kernel_implIZZZNS0_12_GLOBAL__N_130modified_bessel_i0_kernel_cudaERNS_18TensorIteratorBaseEENKUlvE_clEvENKUlvE_clEvEUldE_EEvS5_RKT_EUlibE_EEviT1_,comdat
.Lfunc_end8:
	.size	_ZN2at6native32elementwise_kernel_manual_unrollILi128ELi4EZNS0_15gpu_kernel_implIZZZNS0_12_GLOBAL__N_130modified_bessel_i0_kernel_cudaERNS_18TensorIteratorBaseEENKUlvE_clEvENKUlvE_clEvEUldE_EEvS5_RKT_EUlibE_EEviT1_, .Lfunc_end8-_ZN2at6native32elementwise_kernel_manual_unrollILi128ELi4EZNS0_15gpu_kernel_implIZZZNS0_12_GLOBAL__N_130modified_bessel_i0_kernel_cudaERNS_18TensorIteratorBaseEENKUlvE_clEvENKUlvE_clEvEUldE_EEvS5_RKT_EUlibE_EEviT1_
                                        ; -- End function
	.set _ZN2at6native32elementwise_kernel_manual_unrollILi128ELi4EZNS0_15gpu_kernel_implIZZZNS0_12_GLOBAL__N_130modified_bessel_i0_kernel_cudaERNS_18TensorIteratorBaseEENKUlvE_clEvENKUlvE_clEvEUldE_EEvS5_RKT_EUlibE_EEviT1_.num_vgpr, 29
	.set _ZN2at6native32elementwise_kernel_manual_unrollILi128ELi4EZNS0_15gpu_kernel_implIZZZNS0_12_GLOBAL__N_130modified_bessel_i0_kernel_cudaERNS_18TensorIteratorBaseEENKUlvE_clEvENKUlvE_clEvEUldE_EEvS5_RKT_EUlibE_EEviT1_.num_agpr, 0
	.set _ZN2at6native32elementwise_kernel_manual_unrollILi128ELi4EZNS0_15gpu_kernel_implIZZZNS0_12_GLOBAL__N_130modified_bessel_i0_kernel_cudaERNS_18TensorIteratorBaseEENKUlvE_clEvENKUlvE_clEvEUldE_EEvS5_RKT_EUlibE_EEviT1_.numbered_sgpr, 26
	.set _ZN2at6native32elementwise_kernel_manual_unrollILi128ELi4EZNS0_15gpu_kernel_implIZZZNS0_12_GLOBAL__N_130modified_bessel_i0_kernel_cudaERNS_18TensorIteratorBaseEENKUlvE_clEvENKUlvE_clEvEUldE_EEvS5_RKT_EUlibE_EEviT1_.num_named_barrier, 0
	.set _ZN2at6native32elementwise_kernel_manual_unrollILi128ELi4EZNS0_15gpu_kernel_implIZZZNS0_12_GLOBAL__N_130modified_bessel_i0_kernel_cudaERNS_18TensorIteratorBaseEENKUlvE_clEvENKUlvE_clEvEUldE_EEvS5_RKT_EUlibE_EEviT1_.private_seg_size, 0
	.set _ZN2at6native32elementwise_kernel_manual_unrollILi128ELi4EZNS0_15gpu_kernel_implIZZZNS0_12_GLOBAL__N_130modified_bessel_i0_kernel_cudaERNS_18TensorIteratorBaseEENKUlvE_clEvENKUlvE_clEvEUldE_EEvS5_RKT_EUlibE_EEviT1_.uses_vcc, 1
	.set _ZN2at6native32elementwise_kernel_manual_unrollILi128ELi4EZNS0_15gpu_kernel_implIZZZNS0_12_GLOBAL__N_130modified_bessel_i0_kernel_cudaERNS_18TensorIteratorBaseEENKUlvE_clEvENKUlvE_clEvEUldE_EEvS5_RKT_EUlibE_EEviT1_.uses_flat_scratch, 0
	.set _ZN2at6native32elementwise_kernel_manual_unrollILi128ELi4EZNS0_15gpu_kernel_implIZZZNS0_12_GLOBAL__N_130modified_bessel_i0_kernel_cudaERNS_18TensorIteratorBaseEENKUlvE_clEvENKUlvE_clEvEUldE_EEvS5_RKT_EUlibE_EEviT1_.has_dyn_sized_stack, 0
	.set _ZN2at6native32elementwise_kernel_manual_unrollILi128ELi4EZNS0_15gpu_kernel_implIZZZNS0_12_GLOBAL__N_130modified_bessel_i0_kernel_cudaERNS_18TensorIteratorBaseEENKUlvE_clEvENKUlvE_clEvEUldE_EEvS5_RKT_EUlibE_EEviT1_.has_recursion, 0
	.set _ZN2at6native32elementwise_kernel_manual_unrollILi128ELi4EZNS0_15gpu_kernel_implIZZZNS0_12_GLOBAL__N_130modified_bessel_i0_kernel_cudaERNS_18TensorIteratorBaseEENKUlvE_clEvENKUlvE_clEvEUldE_EEvS5_RKT_EUlibE_EEviT1_.has_indirect_call, 0
	.section	.AMDGPU.csdata,"",@progbits
; Kernel info:
; codeLenInByte = 57312
; TotalNumSgprs: 28
; NumVgprs: 29
; ScratchSize: 0
; MemoryBound: 1
; FloatMode: 240
; IeeeMode: 1
; LDSByteSize: 0 bytes/workgroup (compile time only)
; SGPRBlocks: 0
; VGPRBlocks: 3
; NumSGPRsForWavesPerEU: 28
; NumVGPRsForWavesPerEU: 29
; Occupancy: 16
; WaveLimiterHint : 0
; COMPUTE_PGM_RSRC2:SCRATCH_EN: 0
; COMPUTE_PGM_RSRC2:USER_SGPR: 6
; COMPUTE_PGM_RSRC2:TRAP_HANDLER: 0
; COMPUTE_PGM_RSRC2:TGID_X_EN: 1
; COMPUTE_PGM_RSRC2:TGID_Y_EN: 0
; COMPUTE_PGM_RSRC2:TGID_Z_EN: 0
; COMPUTE_PGM_RSRC2:TIDIG_COMP_CNT: 0
	.section	.text._ZN2at6native32elementwise_kernel_manual_unrollILi128ELi4EZNS0_15gpu_kernel_implIZZZNS0_12_GLOBAL__N_130modified_bessel_i0_kernel_cudaERNS_18TensorIteratorBaseEENKUlvE_clEvENKUlvE_clEvEUldE_EEvS5_RKT_EUlibE0_EEviT1_,"axG",@progbits,_ZN2at6native32elementwise_kernel_manual_unrollILi128ELi4EZNS0_15gpu_kernel_implIZZZNS0_12_GLOBAL__N_130modified_bessel_i0_kernel_cudaERNS_18TensorIteratorBaseEENKUlvE_clEvENKUlvE_clEvEUldE_EEvS5_RKT_EUlibE0_EEviT1_,comdat
	.globl	_ZN2at6native32elementwise_kernel_manual_unrollILi128ELi4EZNS0_15gpu_kernel_implIZZZNS0_12_GLOBAL__N_130modified_bessel_i0_kernel_cudaERNS_18TensorIteratorBaseEENKUlvE_clEvENKUlvE_clEvEUldE_EEvS5_RKT_EUlibE0_EEviT1_ ; -- Begin function _ZN2at6native32elementwise_kernel_manual_unrollILi128ELi4EZNS0_15gpu_kernel_implIZZZNS0_12_GLOBAL__N_130modified_bessel_i0_kernel_cudaERNS_18TensorIteratorBaseEENKUlvE_clEvENKUlvE_clEvEUldE_EEvS5_RKT_EUlibE0_EEviT1_
	.p2align	8
	.type	_ZN2at6native32elementwise_kernel_manual_unrollILi128ELi4EZNS0_15gpu_kernel_implIZZZNS0_12_GLOBAL__N_130modified_bessel_i0_kernel_cudaERNS_18TensorIteratorBaseEENKUlvE_clEvENKUlvE_clEvEUldE_EEvS5_RKT_EUlibE0_EEviT1_,@function
_ZN2at6native32elementwise_kernel_manual_unrollILi128ELi4EZNS0_15gpu_kernel_implIZZZNS0_12_GLOBAL__N_130modified_bessel_i0_kernel_cudaERNS_18TensorIteratorBaseEENKUlvE_clEvENKUlvE_clEvEUldE_EEvS5_RKT_EUlibE0_EEviT1_: ; @_ZN2at6native32elementwise_kernel_manual_unrollILi128ELi4EZNS0_15gpu_kernel_implIZZZNS0_12_GLOBAL__N_130modified_bessel_i0_kernel_cudaERNS_18TensorIteratorBaseEENKUlvE_clEvENKUlvE_clEvEUldE_EEvS5_RKT_EUlibE0_EEviT1_
; %bb.0:
	s_clause 0x1
	s_load_dword s24, s[4:5], 0x8
	s_load_dword s33, s[4:5], 0x0
	v_lshl_or_b32 v8, s6, 9, v0
	s_add_u32 s2, s4, 8
	s_addc_u32 s3, s5, 0
	s_mov_b32 s1, -1
	s_mov_b32 s26, 0
	v_or_b32_e32 v5, 0x180, v8
	s_mov_b32 s12, 0
	s_mov_b32 s0, exec_lo
	s_waitcnt lgkmcnt(0)
	s_add_i32 s25, s24, -1
	s_cmp_gt_u32 s25, 1
	s_cselect_b32 s27, -1, 0
	v_cmpx_le_i32_e64 s33, v5
	s_xor_b32 s28, exec_lo, s0
	s_cbranch_execz .LBB9_1105
; %bb.1:
	v_mov_b32_e32 v0, 0
	s_clause 0x3
	s_load_dwordx4 s[16:19], s[2:3], 0x4
	s_load_dwordx2 s[6:7], s[2:3], 0x14
	s_load_dwordx4 s[12:15], s[2:3], 0xc4
	s_load_dwordx4 s[8:11], s[2:3], 0x148
	s_cmp_lg_u32 s24, 0
	s_mov_b32 s39, 0
	s_cselect_b32 s34, -1, 0
	global_load_ushort v0, v0, s[2:3] offset:345
	s_add_u32 s20, s2, 0xc4
	s_addc_u32 s21, s3, 0
	s_min_u32 s35, s25, 15
	s_cmp_gt_u32 s24, 1
	s_mov_b32 s37, 0
	s_cselect_b32 s31, -1, 0
	s_mov_b32 s36, 0
	s_mov_b32 s38, exec_lo
	s_waitcnt vmcnt(0)
	v_readfirstlane_b32 s29, v0
	s_and_b32 s0, 0xffff, s29
	s_lshr_b32 s30, s0, 8
	v_cmpx_gt_i32_e64 s33, v8
	s_cbranch_execz .LBB9_270
; %bb.2:
	s_andn2_b32 vcc_lo, exec_lo, s27
	s_cbranch_vccnz .LBB9_7
; %bb.3:
	s_andn2_b32 vcc_lo, exec_lo, s34
	s_cbranch_vccnz .LBB9_8
; %bb.4:
	s_add_i32 s37, s35, 1
	s_cmp_eq_u32 s25, 2
	s_cbranch_scc1 .LBB9_9
; %bb.5:
	v_mov_b32_e32 v0, 0
	v_mov_b32_e32 v2, 0
	;; [unrolled: 1-line block ×3, first 2 shown]
	s_and_b32 s36, s37, 28
	s_mov_b32 s40, 0
	s_mov_b64 s[0:1], s[2:3]
	s_mov_b64 s[22:23], s[20:21]
.LBB9_6:                                ; =>This Inner Loop Header: Depth=1
	s_clause 0x1
	s_load_dwordx8 s[44:51], s[0:1], 0x4
	s_load_dwordx4 s[60:63], s[0:1], 0x24
	s_load_dwordx8 s[52:59], s[22:23], 0x0
	s_add_u32 s0, s0, 48
	s_addc_u32 s1, s1, 0
	s_add_i32 s40, s40, 4
	s_add_u32 s22, s22, 32
	s_addc_u32 s23, s23, 0
	s_cmp_lg_u32 s36, s40
	s_waitcnt lgkmcnt(0)
	v_mul_hi_u32 v3, s45, v1
	v_add_nc_u32_e32 v3, v1, v3
	v_lshrrev_b32_e32 v3, s46, v3
	v_mul_hi_u32 v4, s48, v3
	v_mul_lo_u32 v6, v3, s44
	v_add_nc_u32_e32 v4, v3, v4
	v_sub_nc_u32_e32 v1, v1, v6
	v_lshrrev_b32_e32 v4, s49, v4
	v_mul_lo_u32 v6, v1, s52
	v_mul_lo_u32 v9, v1, s53
	v_mul_hi_u32 v5, s51, v4
	v_add_nc_u32_e32 v5, v4, v5
	v_lshrrev_b32_e32 v5, s60, v5
	v_mul_hi_u32 v7, s62, v5
	v_mul_lo_u32 v10, v5, s50
	v_add_nc_u32_e32 v1, v5, v7
	v_mul_lo_u32 v7, v4, s47
	v_sub_nc_u32_e32 v4, v4, v10
	v_lshrrev_b32_e32 v1, s63, v1
	v_mul_lo_u32 v10, v4, s56
	v_mul_lo_u32 v4, v4, s57
	v_sub_nc_u32_e32 v3, v3, v7
	v_mul_lo_u32 v11, v1, s61
	v_mul_lo_u32 v7, v3, s54
	;; [unrolled: 1-line block ×3, first 2 shown]
	v_sub_nc_u32_e32 v5, v5, v11
	v_add3_u32 v2, v6, v2, v7
	v_mul_lo_u32 v11, v5, s58
	v_mul_lo_u32 v5, v5, s59
	v_add3_u32 v0, v9, v0, v3
	v_add3_u32 v2, v10, v2, v11
	;; [unrolled: 1-line block ×3, first 2 shown]
	s_cbranch_scc1 .LBB9_6
	s_branch .LBB9_10
.LBB9_7:
                                        ; implicit-def: $vgpr2
                                        ; implicit-def: $vgpr0
	s_branch .LBB9_14
.LBB9_8:
	v_mov_b32_e32 v2, 0
	v_mov_b32_e32 v0, 0
	s_branch .LBB9_13
.LBB9_9:
	v_mov_b32_e32 v2, 0
	v_mov_b32_e32 v0, 0
	v_mov_b32_e32 v1, v8
.LBB9_10:
	s_and_b32 s37, s37, 3
	s_cmp_eq_u32 s37, 0
	s_cbranch_scc1 .LBB9_13
; %bb.11:
	s_lshl_b32 s0, s36, 3
	s_mul_i32 s22, s36, 12
	s_add_u32 s0, s2, s0
	s_addc_u32 s1, s3, 0
	s_add_u32 s0, s0, 0xc4
	s_addc_u32 s1, s1, 0
	;; [unrolled: 2-line block ×3, first 2 shown]
	.p2align	6
.LBB9_12:                               ; =>This Inner Loop Header: Depth=1
	s_clause 0x1
	s_load_dwordx2 s[40:41], s[22:23], 0x4
	s_load_dword s36, s[22:23], 0xc
	s_load_dwordx2 s[42:43], s[0:1], 0x0
	s_add_u32 s22, s22, 12
	s_addc_u32 s23, s23, 0
	s_add_u32 s0, s0, 8
	s_addc_u32 s1, s1, 0
	s_add_i32 s37, s37, -1
	s_cmp_lg_u32 s37, 0
	s_waitcnt lgkmcnt(0)
	v_mul_hi_u32 v3, s41, v1
	v_add_nc_u32_e32 v3, v1, v3
	v_lshrrev_b32_e32 v4, s36, v3
	v_mul_lo_u32 v3, v4, s40
	v_sub_nc_u32_e32 v1, v1, v3
	v_mad_u64_u32 v[2:3], null, v1, s42, v[2:3]
	v_mad_u64_u32 v[0:1], null, v1, s43, v[0:1]
	v_mov_b32_e32 v1, v4
	s_cbranch_scc1 .LBB9_12
.LBB9_13:
	s_cbranch_execnz .LBB9_16
.LBB9_14:
	s_waitcnt lgkmcnt(0)
	v_mul_hi_u32 v0, s17, v8
	s_andn2_b32 vcc_lo, exec_lo, s31
	v_add_nc_u32_e32 v0, v8, v0
	v_lshrrev_b32_e32 v1, s18, v0
	v_mul_lo_u32 v0, v1, s16
	v_sub_nc_u32_e32 v0, v8, v0
	v_mul_lo_u32 v2, v0, s12
	v_mul_lo_u32 v0, v0, s13
	s_cbranch_vccnz .LBB9_16
; %bb.15:
	v_mul_hi_u32 v3, s6, v1
	v_add_nc_u32_e32 v3, v1, v3
	v_lshrrev_b32_e32 v3, s7, v3
	v_mul_lo_u32 v3, v3, s19
	v_sub_nc_u32_e32 v1, v1, v3
	v_mad_u64_u32 v[2:3], null, v1, s14, v[2:3]
	v_mad_u64_u32 v[0:1], null, v1, s15, v[0:1]
.LBB9_16:
	s_waitcnt lgkmcnt(0)
	v_add_co_u32 v0, s0, s10, v0
	v_add_co_ci_u32_e64 v1, null, s11, 0, s0
	s_and_b32 s0, 0xffff, s30
	s_cmp_lt_i32 s0, 11
	s_cbranch_scc1 .LBB9_23
; %bb.17:
	s_cmp_gt_i32 s0, 25
	s_cbranch_scc0 .LBB9_36
; %bb.18:
	s_cmp_gt_i32 s0, 28
	s_cbranch_scc0 .LBB9_39
	;; [unrolled: 3-line block ×4, first 2 shown]
; %bb.21:
	s_cmp_eq_u32 s0, 46
	s_mov_b32 s23, 0
	s_cbranch_scc0 .LBB9_45
; %bb.22:
	global_load_dword v3, v[0:1], off
	s_mov_b32 s22, -1
	s_mov_b32 s1, 0
	s_waitcnt vmcnt(0)
	v_lshlrev_b32_e32 v3, 16, v3
	v_cvt_f64_f32_e32 v[3:4], v3
	s_branch .LBB9_47
.LBB9_23:
	s_mov_b32 s1, 0
	s_mov_b32 s22, 0
                                        ; implicit-def: $vgpr3_vgpr4
	s_cbranch_execnz .LBB9_220
.LBB9_24:
	s_andn2_b32 vcc_lo, exec_lo, s22
	s_cbranch_vccnz .LBB9_267
.LBB9_25:
	s_waitcnt vmcnt(0)
	v_cmp_ge_f64_e64 s0, 0x40200000, |v[3:4]|
                                        ; implicit-def: $vgpr0_vgpr1
	s_and_saveexec_b32 s22, s0
	s_xor_b32 s0, exec_lo, s22
	s_cbranch_execz .LBB9_27
; %bb.26:
	v_fma_f64 v[0:1], |v[3:4]|, 0.5, -2.0
	s_mov_b32 s22, 0x977da589
	s_mov_b32 s23, 0x3c833362
	;; [unrolled: 1-line block ×4, first 2 shown]
	v_fma_f64 v[5:6], v[0:1], s[36:37], s[22:23]
	s_mov_b32 s37, 0x3c545cb7
	s_mov_b32 s22, 0x721ebbb4
	;; [unrolled: 1-line block ×3, first 2 shown]
	v_fma_f64 v[9:10], v[0:1], v[5:6], s[36:37]
	s_mov_b32 s36, 0x3b39803f
	s_mov_b32 s37, 0xbc7abc9e
	v_add_f64 v[9:10], v[9:10], s[22:23]
	s_mov_b32 s22, 0x93f65eba
	s_mov_b32 s23, 0x3cdee6d8
	v_fma_f64 v[5:6], v[0:1], v[9:10], -v[5:6]
	v_add_f64 v[5:6], v[5:6], s[22:23]
	s_mov_b32 s22, 0xc297fbeb
	s_mov_b32 s23, 0xbd0a5022
	v_fma_f64 v[9:10], v[0:1], v[5:6], -v[9:10]
	;; [unrolled: 4-line block ×20, first 2 shown]
	v_add_f64 v[9:10], v[9:10], s[22:23]
	s_mov_b32 s22, 0x652b82fe
	s_mov_b32 s23, 0x3ff71547
	v_mul_f64 v[11:12], |v[3:4]|, s[22:23]
	s_mov_b32 s22, 0xf3dde3dd
	s_mov_b32 s23, 0x3f859961
	v_fma_f64 v[5:6], v[0:1], v[9:10], -v[5:6]
	v_rndne_f64_e32 v[11:12], v[11:12]
	v_add_f64 v[5:6], v[5:6], s[22:23]
	s_mov_b32 s22, 0xfefa39ef
	s_mov_b32 s23, 0xbfe62e42
	v_fma_f64 v[3:4], v[11:12], s[22:23], |v[3:4]|
	s_mov_b32 s22, 0xf121b6f0
	s_mov_b32 s23, 0xbf984e9e
	v_cvt_i32_f64_e32 v7, v[11:12]
	v_fma_f64 v[9:10], v[0:1], v[5:6], -v[9:10]
	v_fma_f64 v[3:4], v[11:12], s[36:37], v[3:4]
	s_mov_b32 s36, 0x6a5dcb37
	s_mov_b32 s37, 0x3e5ade15
	v_add_f64 v[9:10], v[9:10], s[22:23]
	s_mov_b32 s22, 0xfca7ab0c
	s_mov_b32 s23, 0x3e928af3
	v_fma_f64 v[13:14], v[3:4], s[36:37], s[22:23]
	s_mov_b32 s22, 0xcea8a32d
	s_mov_b32 s36, 0x623fde64
	;; [unrolled: 1-line block ×4, first 2 shown]
	v_fma_f64 v[5:6], v[0:1], v[9:10], -v[5:6]
	v_fma_f64 v[13:14], v[3:4], v[13:14], s[36:37]
	s_mov_b32 s36, 0x14761f6e
	s_mov_b32 s37, 0x3f2a01a0
	v_add_f64 v[5:6], v[5:6], s[22:23]
	s_mov_b32 s22, 0x7c89e6b0
	s_mov_b32 s23, 0x3efa0199
	v_fma_f64 v[13:14], v[3:4], v[13:14], s[22:23]
	s_mov_b32 s22, 0x342d06ea
	s_mov_b32 s23, 0xbfb84b70
	v_fma_f64 v[9:10], v[0:1], v[5:6], -v[9:10]
	v_fma_f64 v[13:14], v[3:4], v[13:14], s[36:37]
	s_mov_b32 s36, 0x11122322
	s_mov_b32 s37, 0x3f811111
	v_add_f64 v[9:10], v[9:10], s[22:23]
	s_mov_b32 s22, 0x1852b7b0
	s_mov_b32 s23, 0x3f56c16c
	v_fma_f64 v[13:14], v[3:4], v[13:14], s[22:23]
	s_mov_b32 s22, 0x77ac88c0
	s_mov_b32 s23, 0x3fc5f7ac
	;; [unrolled: 10-line block ×3, first 2 shown]
	v_fma_f64 v[9:10], v[0:1], v[5:6], -v[9:10]
	v_fma_f64 v[13:14], v[3:4], v[13:14], s[36:37]
	v_add_f64 v[9:10], v[9:10], s[22:23]
	s_mov_b32 s22, 11
	s_mov_b32 s23, 0x3fe00000
	v_fma_f64 v[13:14], v[3:4], v[13:14], s[22:23]
	s_mov_b32 s22, 0x9035a22a
	s_mov_b32 s23, 0x3fe5a84e
	v_fma_f64 v[0:1], v[0:1], v[9:10], -v[5:6]
	v_fma_f64 v[9:10], v[3:4], v[13:14], 1.0
	v_add_f64 v[0:1], v[0:1], s[22:23]
	v_fma_f64 v[3:4], v[3:4], v[9:10], 1.0
	v_add_f64 v[0:1], v[0:1], -v[5:6]
	v_ldexp_f64 v[3:4], v[3:4], v7
	v_mul_f64 v[0:1], v[0:1], 0.5
	v_mul_f64 v[0:1], v[3:4], v[0:1]
                                        ; implicit-def: $vgpr3_vgpr4
.LBB9_27:
	s_andn2_saveexec_b32 s22, s0
	s_cbranch_execz .LBB9_29
; %bb.28:
	v_and_b32_e32 v1, 0x7fffffff, v4
	v_mov_b32_e32 v0, v3
	s_mov_b32 s36, 0x66119130
	s_mov_b32 s37, 0xbc5646da
	;; [unrolled: 1-line block ×4, first 2 shown]
	v_div_scale_f64 v[5:6], null, v[0:1], v[0:1], 0x40400000
	v_div_scale_f64 v[0:1], vcc_lo, 0x40400000, v[0:1], 0x40400000
	v_cmp_gt_f64_e64 s0, 0x10000000, |v[3:4]|
	v_rcp_f64_e32 v[9:10], v[5:6]
	v_cndmask_b32_e64 v7, 0, 0x100, s0
	v_ldexp_f64 v[17:18], |v[3:4]|, v7
	v_fma_f64 v[11:12], -v[5:6], v[9:10], 1.0
	v_rsq_f64_e32 v[19:20], v[17:18]
	v_fma_f64 v[9:10], v[9:10], v[11:12], v[9:10]
	v_mul_f64 v[21:22], v[17:18], v[19:20]
	v_mul_f64 v[19:20], v[19:20], 0.5
	v_fma_f64 v[11:12], -v[5:6], v[9:10], 1.0
	v_fma_f64 v[23:24], -v[19:20], v[21:22], 0.5
	v_fma_f64 v[9:10], v[9:10], v[11:12], v[9:10]
	v_fma_f64 v[21:22], v[21:22], v[23:24], v[21:22]
	;; [unrolled: 1-line block ×3, first 2 shown]
	v_mul_f64 v[11:12], v[0:1], v[9:10]
	v_fma_f64 v[23:24], -v[21:22], v[21:22], v[17:18]
	v_fma_f64 v[0:1], -v[5:6], v[11:12], v[0:1]
	v_div_fmas_f64 v[0:1], v[0:1], v[9:10], v[11:12]
	v_cmp_nlt_f64_e64 vcc_lo, 0x40900000, |v[3:4]|
	v_div_fixup_f64 v[0:1], v[0:1], |v[3:4]|, 0x40400000
	v_add_f64 v[0:1], v[0:1], -2.0
	v_fma_f64 v[5:6], v[0:1], s[40:41], s[36:37]
	s_mov_b32 s41, 0x3c60adb7
	s_mov_b32 s36, 0x12d98421
	;; [unrolled: 1-line block ×3, first 2 shown]
	v_fma_f64 v[9:10], v[0:1], v[5:6], s[40:41]
	s_mov_b32 s40, 0x6a5dcb37
	s_mov_b32 s41, 0x3e5ade15
	v_add_f64 v[9:10], v[9:10], s[36:37]
	s_mov_b32 s36, 0x76041cd
	s_mov_b32 s37, 0x3c83f3dd
	v_fma_f64 v[5:6], v[0:1], v[9:10], -v[5:6]
	v_add_f64 v[5:6], v[5:6], s[36:37]
	s_mov_b32 s36, 0xabd21fe4
	s_mov_b32 s37, 0xbcb4600b
	v_fma_f64 v[9:10], v[0:1], v[5:6], -v[9:10]
	;; [unrolled: 4-line block ×15, first 2 shown]
	v_add_f64 v[5:6], v[5:6], s[36:37]
	s_mov_b32 s36, 0x652b82fe
	s_mov_b32 s37, 0x3ff71547
	v_mul_f64 v[11:12], |v[3:4]|, s[36:37]
	s_mov_b32 s36, 0xa9225b87
	s_mov_b32 s37, 0x3e2d2c64
	v_fma_f64 v[9:10], v[0:1], v[5:6], -v[9:10]
	v_rndne_f64_e32 v[11:12], v[11:12]
	v_add_f64 v[9:10], v[9:10], s[36:37]
	s_mov_b32 s36, 0xfefa39ef
	s_mov_b32 s37, 0xbfe62e42
	v_fma_f64 v[13:14], v[11:12], s[36:37], |v[3:4]|
	s_mov_b32 s36, 0x3b39803f
	s_mov_b32 s37, 0xbc7abc9e
	v_cvt_i32_f64_e32 v7, v[11:12]
	v_cndmask_b32_e64 v3, 0, 0xffffff80, s0
	v_cmp_class_f64_e64 s0, v[17:18], 0x260
	v_fma_f64 v[5:6], v[0:1], v[9:10], -v[5:6]
	v_fma_f64 v[13:14], v[11:12], s[36:37], v[13:14]
	s_mov_b32 s36, 0x80d6d56d
	s_mov_b32 s37, 0x3e585692
	v_add_f64 v[5:6], v[5:6], s[36:37]
	s_mov_b32 s36, 0xfca7ab0c
	s_mov_b32 s37, 0x3e928af3
	v_fma_f64 v[15:16], v[13:14], s[40:41], s[36:37]
	s_mov_b32 s36, 0x623fde64
	s_mov_b32 s37, 0x3ec71dee
	v_fma_f64 v[9:10], v[0:1], v[5:6], -v[9:10]
	v_fma_f64 v[15:16], v[13:14], v[15:16], s[36:37]
	s_mov_b32 s36, 0xd9cd616e
	s_mov_b32 s37, 0x3e8b8007
	v_add_f64 v[9:10], v[9:10], s[36:37]
	s_mov_b32 s36, 0x7c89e6b0
	s_mov_b32 s37, 0x3efa0199
	v_fma_f64 v[15:16], v[13:14], v[15:16], s[36:37]
	s_mov_b32 s36, 0x14761f6e
	s_mov_b32 s37, 0x3f2a01a0
	;; [unrolled: 10-line block ×5, first 2 shown]
	v_fma_f64 v[0:1], v[0:1], v[5:6], -v[9:10]
	v_fma_f64 v[5:6], v[23:24], v[19:20], v[21:22]
	v_fma_f64 v[15:16], v[13:14], v[15:16], 1.0
	v_add_f64 v[0:1], v[0:1], s[36:37]
	v_fma_f64 v[21:22], -v[5:6], v[5:6], v[17:18]
	v_fma_f64 v[11:12], v[13:14], v[15:16], 1.0
	v_add_f64 v[0:1], v[0:1], -v[9:10]
	v_fma_f64 v[5:6], v[21:22], v[19:20], v[5:6]
	v_ldexp_f64 v[9:10], v[11:12], v7
	v_mul_f64 v[0:1], v[0:1], 0.5
	v_ldexp_f64 v[3:4], v[5:6], v3
	v_cndmask_b32_e32 v6, 0x7ff00000, v10, vcc_lo
	v_cndmask_b32_e32 v5, 0, v9, vcc_lo
	v_mul_f64 v[0:1], v[5:6], v[0:1]
	v_cndmask_b32_e64 v4, v4, v18, s0
	v_cndmask_b32_e64 v3, v3, v17, s0
	v_div_scale_f64 v[5:6], null, v[3:4], v[3:4], v[0:1]
	v_rcp_f64_e32 v[9:10], v[5:6]
	v_fma_f64 v[11:12], -v[5:6], v[9:10], 1.0
	v_fma_f64 v[9:10], v[9:10], v[11:12], v[9:10]
	v_fma_f64 v[11:12], -v[5:6], v[9:10], 1.0
	v_fma_f64 v[9:10], v[9:10], v[11:12], v[9:10]
	v_div_scale_f64 v[11:12], vcc_lo, v[0:1], v[3:4], v[0:1]
	v_mul_f64 v[13:14], v[11:12], v[9:10]
	v_fma_f64 v[5:6], -v[5:6], v[13:14], v[11:12]
	v_div_fmas_f64 v[5:6], v[5:6], v[9:10], v[13:14]
	v_div_fixup_f64 v[0:1], v[5:6], v[3:4], v[0:1]
.LBB9_29:
	s_or_b32 exec_lo, exec_lo, s22
	v_add_co_u32 v4, s0, s8, v2
	v_add_co_ci_u32_e64 v5, null, s9, 0, s0
	s_and_b32 s22, s29, 0xff
	s_cmp_lt_i32 s22, 11
	s_cbranch_scc1 .LBB9_37
; %bb.30:
	s_and_b32 s23, 0xffff, s22
	s_cmp_gt_i32 s23, 25
	s_cbranch_scc0 .LBB9_40
; %bb.31:
	s_cmp_gt_i32 s23, 28
	s_cbranch_scc0 .LBB9_42
; %bb.32:
	;; [unrolled: 3-line block ×4, first 2 shown]
	s_mov_b32 s37, 0
	s_mov_b32 s0, -1
	s_cmp_eq_u32 s23, 46
	s_mov_b32 s36, 0
	s_cbranch_scc0 .LBB9_51
; %bb.35:
	v_cvt_f32_f64_e32 v2, v[0:1]
	s_mov_b32 s36, -1
	s_mov_b32 s0, 0
	v_bfe_u32 v3, v2, 16, 1
	v_cmp_o_f32_e32 vcc_lo, v2, v2
	v_add3_u32 v2, v2, v3, 0x7fff
	v_mov_b32_e32 v3, 0x7fc0
	v_cndmask_b32_sdwa v2, v3, v2, vcc_lo dst_sel:DWORD dst_unused:UNUSED_PAD src0_sel:DWORD src1_sel:WORD_1
	global_store_dword v[4:5], v2, off
	s_branch .LBB9_51
.LBB9_36:
	s_mov_b32 s1, 0
	s_mov_b32 s22, 0
                                        ; implicit-def: $vgpr3_vgpr4
	s_cbranch_execnz .LBB9_187
	s_branch .LBB9_219
.LBB9_37:
	s_mov_b32 s0, 0
	s_mov_b32 s36, 0
	s_cbranch_execnz .LBB9_120
.LBB9_38:
	s_andn2_b32 vcc_lo, exec_lo, s36
	s_cbranch_vccz .LBB9_158
	s_branch .LBB9_268
.LBB9_39:
	s_mov_b32 s23, -1
	s_mov_b32 s1, 0
	s_mov_b32 s22, 0
                                        ; implicit-def: $vgpr3_vgpr4
	s_branch .LBB9_166
.LBB9_40:
	s_mov_b32 s37, -1
	s_mov_b32 s0, 0
	s_mov_b32 s36, 0
	s_branch .LBB9_78
.LBB9_41:
	s_mov_b32 s23, -1
	s_mov_b32 s1, 0
	s_mov_b32 s22, 0
                                        ; implicit-def: $vgpr3_vgpr4
	s_branch .LBB9_161
.LBB9_42:
	s_mov_b32 s37, -1
	s_mov_b32 s0, 0
	s_mov_b32 s36, 0
	s_branch .LBB9_61
.LBB9_43:
	s_mov_b32 s23, -1
	s_mov_b32 s1, 0
	s_branch .LBB9_46
.LBB9_44:
	s_mov_b32 s37, -1
	s_mov_b32 s0, 0
	s_mov_b32 s36, 0
	s_branch .LBB9_57
.LBB9_45:
	s_mov_b32 s1, -1
.LBB9_46:
	s_mov_b32 s22, 0
                                        ; implicit-def: $vgpr3_vgpr4
.LBB9_47:
	s_and_b32 vcc_lo, exec_lo, s23
	s_cbranch_vccz .LBB9_160
; %bb.48:
	s_cmp_eq_u32 s0, 44
	s_cbranch_scc0 .LBB9_159
; %bb.49:
	global_load_ubyte v5, v[0:1], off
	s_mov_b32 s1, 0
	s_mov_b32 s22, -1
	s_waitcnt vmcnt(0)
	v_lshlrev_b32_e32 v3, 23, v5
	v_cmp_ne_u32_e32 vcc_lo, 0xff, v5
	v_cvt_f64_f32_e32 v[3:4], v3
	v_cndmask_b32_e32 v3, 0x20000000, v3, vcc_lo
	v_cndmask_b32_e32 v4, 0x7ff80000, v4, vcc_lo
	v_cmp_ne_u32_e32 vcc_lo, 0, v5
	v_cndmask_b32_e32 v4, 0x38000000, v4, vcc_lo
	v_cndmask_b32_e32 v3, 0, v3, vcc_lo
	s_branch .LBB9_160
.LBB9_50:
	s_mov_b32 s37, -1
	s_mov_b32 s0, 0
	s_mov_b32 s36, 0
.LBB9_51:
	s_and_b32 vcc_lo, exec_lo, s37
	s_cbranch_vccz .LBB9_56
; %bb.52:
	s_cmp_eq_u32 s23, 44
	s_mov_b32 s0, -1
	s_cbranch_scc0 .LBB9_56
; %bb.53:
	v_cvt_f32_f64_e32 v2, v[0:1]
	v_mov_b32_e32 v3, 0xff
	s_mov_b32 s36, exec_lo
	v_bfe_u32 v6, v2, 23, 8
	v_cmpx_ne_u32_e32 0xff, v6
	s_cbranch_execz .LBB9_55
; %bb.54:
	v_and_b32_e32 v3, 0x400000, v2
	v_and_or_b32 v6, 0x3fffff, v2, v6
	v_lshrrev_b32_e32 v2, 23, v2
	v_cmp_ne_u32_e32 vcc_lo, 0, v3
	v_cmp_ne_u32_e64 s0, 0, v6
	s_and_b32 s0, vcc_lo, s0
	v_cndmask_b32_e64 v3, 0, 1, s0
	v_add_nc_u32_e32 v3, v2, v3
.LBB9_55:
	s_or_b32 exec_lo, exec_lo, s36
	s_mov_b32 s36, -1
	s_mov_b32 s0, 0
	global_store_byte v[4:5], v3, off
.LBB9_56:
	s_mov_b32 s37, 0
.LBB9_57:
	s_and_b32 vcc_lo, exec_lo, s37
	s_cbranch_vccz .LBB9_60
; %bb.58:
	s_cmp_eq_u32 s23, 29
	s_mov_b32 s0, -1
	s_cbranch_scc0 .LBB9_60
; %bb.59:
	v_trunc_f64_e32 v[2:3], v[0:1]
	s_mov_b32 s36, -1
	s_mov_b32 s0, 0
	s_mov_b32 s37, 0
	v_ldexp_f64 v[6:7], v[2:3], 0xffffffe0
	v_floor_f64_e32 v[6:7], v[6:7]
	v_fma_f64 v[2:3], 0xc1f00000, v[6:7], v[2:3]
	v_cvt_u32_f64_e32 v7, v[6:7]
	v_cvt_u32_f64_e32 v6, v[2:3]
	global_store_dwordx2 v[4:5], v[6:7], off
	s_branch .LBB9_61
.LBB9_60:
	s_mov_b32 s37, 0
.LBB9_61:
	s_and_b32 vcc_lo, exec_lo, s37
	s_cbranch_vccz .LBB9_77
; %bb.62:
	s_cmp_lt_i32 s23, 27
	s_mov_b32 s36, -1
	s_cbranch_scc1 .LBB9_68
; %bb.63:
	v_cvt_u32_f64_e32 v2, v[0:1]
	s_cmp_gt_i32 s23, 27
	s_cbranch_scc0 .LBB9_65
; %bb.64:
	s_mov_b32 s36, 0
	global_store_dword v[4:5], v2, off
.LBB9_65:
	s_andn2_b32 vcc_lo, exec_lo, s36
	s_cbranch_vccnz .LBB9_67
; %bb.66:
	global_store_short v[4:5], v2, off
.LBB9_67:
	s_mov_b32 s36, 0
.LBB9_68:
	s_andn2_b32 vcc_lo, exec_lo, s36
	s_cbranch_vccnz .LBB9_76
; %bb.69:
	v_cvt_f32_f64_e32 v2, v[0:1]
	v_mov_b32_e32 v6, 0x80
	s_mov_b32 s36, exec_lo
	v_and_b32_e32 v3, 0x7fffffff, v2
	v_cmpx_gt_u32_e32 0x43800000, v3
	s_cbranch_execz .LBB9_75
; %bb.70:
	v_cmp_lt_u32_e32 vcc_lo, 0x3bffffff, v3
	s_mov_b32 s37, 0
                                        ; implicit-def: $vgpr3
	s_and_saveexec_b32 s40, vcc_lo
	s_xor_b32 s40, exec_lo, s40
	s_cbranch_execz .LBB9_315
; %bb.71:
	v_bfe_u32 v3, v2, 20, 1
	s_mov_b32 s37, exec_lo
	v_add3_u32 v3, v2, v3, 0x487ffff
	v_lshrrev_b32_e32 v3, 20, v3
	s_andn2_saveexec_b32 s40, s40
	s_cbranch_execnz .LBB9_316
.LBB9_72:
	s_or_b32 exec_lo, exec_lo, s40
	v_mov_b32_e32 v6, 0
	s_and_saveexec_b32 s40, s37
.LBB9_73:
	v_lshrrev_b32_e32 v2, 24, v2
	v_and_or_b32 v6, 0x80, v2, v3
.LBB9_74:
	s_or_b32 exec_lo, exec_lo, s40
.LBB9_75:
	s_or_b32 exec_lo, exec_lo, s36
	global_store_byte v[4:5], v6, off
.LBB9_76:
	s_mov_b32 s36, -1
.LBB9_77:
	s_mov_b32 s37, 0
.LBB9_78:
	s_and_b32 vcc_lo, exec_lo, s37
	s_cbranch_vccz .LBB9_119
; %bb.79:
	s_cmp_gt_i32 s23, 22
	s_mov_b32 s37, -1
	s_cbranch_scc0 .LBB9_111
; %bb.80:
	s_cmp_lt_i32 s23, 24
	s_mov_b32 s36, -1
	s_cbranch_scc1 .LBB9_100
; %bb.81:
	s_cmp_gt_i32 s23, 24
	s_cbranch_scc0 .LBB9_89
; %bb.82:
	v_cvt_f32_f64_e32 v2, v[0:1]
	v_mov_b32_e32 v6, 0x80
	s_mov_b32 s36, exec_lo
	v_and_b32_e32 v3, 0x7fffffff, v2
	v_cmpx_gt_u32_e32 0x47800000, v3
	s_cbranch_execz .LBB9_88
; %bb.83:
	v_cmp_lt_u32_e32 vcc_lo, 0x37ffffff, v3
	s_mov_b32 s37, 0
                                        ; implicit-def: $vgpr3
	s_and_saveexec_b32 s40, vcc_lo
	s_xor_b32 s40, exec_lo, s40
	s_cbranch_execz .LBB9_319
; %bb.84:
	v_bfe_u32 v3, v2, 21, 1
	s_mov_b32 s37, exec_lo
	v_add3_u32 v3, v2, v3, 0x88fffff
	v_lshrrev_b32_e32 v3, 21, v3
	s_andn2_saveexec_b32 s40, s40
	s_cbranch_execnz .LBB9_320
.LBB9_85:
	s_or_b32 exec_lo, exec_lo, s40
	v_mov_b32_e32 v6, 0
	s_and_saveexec_b32 s40, s37
.LBB9_86:
	v_lshrrev_b32_e32 v2, 24, v2
	v_and_or_b32 v6, 0x80, v2, v3
.LBB9_87:
	s_or_b32 exec_lo, exec_lo, s40
.LBB9_88:
	s_or_b32 exec_lo, exec_lo, s36
	s_mov_b32 s36, 0
	global_store_byte v[4:5], v6, off
.LBB9_89:
	s_and_b32 vcc_lo, exec_lo, s36
	s_cbranch_vccz .LBB9_99
; %bb.90:
	v_cvt_f32_f64_e32 v2, v[0:1]
	s_mov_b32 s36, exec_lo
                                        ; implicit-def: $vgpr3
	v_and_b32_e32 v6, 0x7fffffff, v2
	v_cmpx_gt_u32_e32 0x43f00000, v6
	s_xor_b32 s36, exec_lo, s36
	s_cbranch_execz .LBB9_96
; %bb.91:
	s_mov_b32 s37, exec_lo
                                        ; implicit-def: $vgpr3
	v_cmpx_lt_u32_e32 0x3c7fffff, v6
	s_xor_b32 s37, exec_lo, s37
; %bb.92:
	v_bfe_u32 v3, v2, 20, 1
	v_add3_u32 v3, v2, v3, 0x407ffff
	v_and_b32_e32 v6, 0xff00000, v3
	v_lshrrev_b32_e32 v3, 20, v3
	v_cmp_ne_u32_e32 vcc_lo, 0x7f00000, v6
	v_cndmask_b32_e32 v3, 0x7e, v3, vcc_lo
; %bb.93:
	s_andn2_saveexec_b32 s37, s37
; %bb.94:
	v_add_f32_e64 v3, 0x46800000, |v2|
; %bb.95:
	s_or_b32 exec_lo, exec_lo, s37
                                        ; implicit-def: $vgpr6
.LBB9_96:
	s_andn2_saveexec_b32 s36, s36
; %bb.97:
	v_mov_b32_e32 v3, 0x7f
	v_cmp_lt_u32_e32 vcc_lo, 0x7f800000, v6
	v_cndmask_b32_e32 v3, 0x7e, v3, vcc_lo
; %bb.98:
	s_or_b32 exec_lo, exec_lo, s36
	v_lshrrev_b32_e32 v2, 24, v2
	v_and_or_b32 v2, 0x80, v2, v3
	global_store_byte v[4:5], v2, off
.LBB9_99:
	s_mov_b32 s36, 0
.LBB9_100:
	s_andn2_b32 vcc_lo, exec_lo, s36
	s_cbranch_vccnz .LBB9_110
; %bb.101:
	v_cvt_f32_f64_e32 v2, v[0:1]
	s_mov_b32 s36, exec_lo
                                        ; implicit-def: $vgpr3
	v_and_b32_e32 v6, 0x7fffffff, v2
	v_cmpx_gt_u32_e32 0x47800000, v6
	s_xor_b32 s36, exec_lo, s36
	s_cbranch_execz .LBB9_107
; %bb.102:
	s_mov_b32 s37, exec_lo
                                        ; implicit-def: $vgpr3
	v_cmpx_lt_u32_e32 0x387fffff, v6
	s_xor_b32 s37, exec_lo, s37
; %bb.103:
	v_bfe_u32 v3, v2, 21, 1
	v_add3_u32 v3, v2, v3, 0x80fffff
	v_lshrrev_b32_e32 v3, 21, v3
; %bb.104:
	s_andn2_saveexec_b32 s37, s37
; %bb.105:
	v_add_f32_e64 v3, 0x43000000, |v2|
; %bb.106:
	s_or_b32 exec_lo, exec_lo, s37
                                        ; implicit-def: $vgpr6
.LBB9_107:
	s_andn2_saveexec_b32 s36, s36
; %bb.108:
	v_mov_b32_e32 v3, 0x7f
	v_cmp_lt_u32_e32 vcc_lo, 0x7f800000, v6
	v_cndmask_b32_e32 v3, 0x7c, v3, vcc_lo
; %bb.109:
	s_or_b32 exec_lo, exec_lo, s36
	v_lshrrev_b32_e32 v2, 24, v2
	v_and_or_b32 v2, 0x80, v2, v3
	global_store_byte v[4:5], v2, off
.LBB9_110:
	s_mov_b32 s37, 0
	s_mov_b32 s36, -1
.LBB9_111:
	s_andn2_b32 vcc_lo, exec_lo, s37
	s_cbranch_vccnz .LBB9_119
; %bb.112:
	s_cmp_gt_i32 s23, 14
	s_mov_b32 s37, -1
	s_cbranch_scc0 .LBB9_116
; %bb.113:
	s_cmp_eq_u32 s23, 15
	s_mov_b32 s0, -1
	s_cbranch_scc0 .LBB9_115
; %bb.114:
	v_cvt_f32_f64_e32 v2, v[0:1]
	s_mov_b32 s36, -1
	s_mov_b32 s0, 0
	v_bfe_u32 v3, v2, 16, 1
	v_cmp_o_f32_e32 vcc_lo, v2, v2
	v_add3_u32 v2, v2, v3, 0x7fff
	v_mov_b32_e32 v3, 0x7fc0
	v_cndmask_b32_sdwa v2, v3, v2, vcc_lo dst_sel:DWORD dst_unused:UNUSED_PAD src0_sel:DWORD src1_sel:WORD_1
	global_store_short v[4:5], v2, off
.LBB9_115:
	s_mov_b32 s37, 0
.LBB9_116:
	s_and_b32 vcc_lo, exec_lo, s37
	s_cbranch_vccz .LBB9_119
; %bb.117:
	s_cmp_eq_u32 s23, 11
	s_mov_b32 s0, -1
	s_cbranch_scc0 .LBB9_119
; %bb.118:
	v_cmp_neq_f64_e32 vcc_lo, 0, v[0:1]
	s_mov_b32 s36, -1
	s_mov_b32 s0, 0
	v_cndmask_b32_e64 v2, 0, 1, vcc_lo
	global_store_byte v[4:5], v2, off
.LBB9_119:
	s_branch .LBB9_38
.LBB9_120:
	s_and_b32 s22, 0xffff, s22
	s_mov_b32 s23, -1
	s_cmp_lt_i32 s22, 5
	s_cbranch_scc1 .LBB9_141
; %bb.121:
	s_cmp_lt_i32 s22, 8
	s_cbranch_scc1 .LBB9_131
; %bb.122:
	;; [unrolled: 3-line block ×3, first 2 shown]
	s_cmp_gt_i32 s22, 9
	s_cbranch_scc0 .LBB9_125
; %bb.124:
	v_mov_b32_e32 v2, 0
	s_mov_b32 s23, 0
	v_mov_b32_e32 v3, v2
	global_store_dwordx4 v[4:5], v[0:3], off
.LBB9_125:
	s_andn2_b32 vcc_lo, exec_lo, s23
	s_cbranch_vccnz .LBB9_127
; %bb.126:
	v_cvt_f32_f64_e32 v2, v[0:1]
	v_mov_b32_e32 v3, 0
	global_store_dwordx2 v[4:5], v[2:3], off
.LBB9_127:
	s_mov_b32 s23, 0
.LBB9_128:
	s_andn2_b32 vcc_lo, exec_lo, s23
	s_cbranch_vccnz .LBB9_130
; %bb.129:
	v_and_or_b32 v2, 0x1ff, v1, v0
	v_lshrrev_b32_e32 v3, 8, v1
	v_bfe_u32 v6, v1, 20, 11
	v_cmp_ne_u32_e32 vcc_lo, 0, v2
	v_sub_nc_u32_e32 v7, 0x3f1, v6
	v_add_nc_u32_e32 v6, 0xfffffc10, v6
	v_cndmask_b32_e64 v2, 0, 1, vcc_lo
	v_and_or_b32 v2, 0xffe, v3, v2
	v_med3_i32 v3, v7, 0, 13
	v_or_b32_e32 v7, 0x1000, v2
	v_lshrrev_b32_e32 v9, v3, v7
	v_lshlrev_b32_e32 v3, v3, v9
	v_cmp_ne_u32_e32 vcc_lo, v3, v7
	v_lshl_or_b32 v7, v6, 12, v2
	v_cndmask_b32_e64 v3, 0, 1, vcc_lo
	v_cmp_gt_i32_e32 vcc_lo, 1, v6
	v_or_b32_e32 v3, v9, v3
	v_cndmask_b32_e32 v3, v7, v3, vcc_lo
	v_and_b32_e32 v7, 7, v3
	v_lshrrev_b32_e32 v3, 2, v3
	v_cmp_lt_i32_e32 vcc_lo, 5, v7
	v_cndmask_b32_e64 v9, 0, 1, vcc_lo
	v_cmp_eq_u32_e32 vcc_lo, 3, v7
	v_cndmask_b32_e64 v7, 0, 1, vcc_lo
	v_cmp_ne_u32_e32 vcc_lo, 0, v2
	v_or_b32_e32 v7, v7, v9
	v_mov_b32_e32 v9, 0x7e00
	v_add_nc_u32_e32 v3, v3, v7
	v_cndmask_b32_e32 v2, 0x7c00, v9, vcc_lo
	v_cmp_gt_i32_e32 vcc_lo, 31, v6
	v_cndmask_b32_e32 v3, 0x7c00, v3, vcc_lo
	v_cmp_eq_u32_e32 vcc_lo, 0x40f, v6
	v_cndmask_b32_e32 v2, v3, v2, vcc_lo
	v_lshrrev_b32_e32 v3, 16, v1
	v_and_or_b32 v2, 0x8000, v3, v2
	v_and_b32_e32 v2, 0xffff, v2
	global_store_dword v[4:5], v2, off
.LBB9_130:
	s_mov_b32 s23, 0
.LBB9_131:
	s_andn2_b32 vcc_lo, exec_lo, s23
	s_cbranch_vccnz .LBB9_140
; %bb.132:
	s_cmp_lt_i32 s22, 6
	s_mov_b32 s23, -1
	s_cbranch_scc1 .LBB9_138
; %bb.133:
	s_cmp_gt_i32 s22, 6
	s_cbranch_scc0 .LBB9_135
; %bb.134:
	s_mov_b32 s23, 0
	global_store_dwordx2 v[4:5], v[0:1], off
.LBB9_135:
	s_andn2_b32 vcc_lo, exec_lo, s23
	s_cbranch_vccnz .LBB9_137
; %bb.136:
	v_cvt_f32_f64_e32 v2, v[0:1]
	global_store_dword v[4:5], v2, off
.LBB9_137:
	s_mov_b32 s23, 0
.LBB9_138:
	s_andn2_b32 vcc_lo, exec_lo, s23
	s_cbranch_vccnz .LBB9_140
; %bb.139:
	v_and_or_b32 v2, 0x1ff, v1, v0
	v_lshrrev_b32_e32 v3, 8, v1
	v_bfe_u32 v6, v1, 20, 11
	v_cmp_ne_u32_e32 vcc_lo, 0, v2
	v_sub_nc_u32_e32 v7, 0x3f1, v6
	v_add_nc_u32_e32 v6, 0xfffffc10, v6
	v_cndmask_b32_e64 v2, 0, 1, vcc_lo
	v_and_or_b32 v2, 0xffe, v3, v2
	v_med3_i32 v3, v7, 0, 13
	v_or_b32_e32 v7, 0x1000, v2
	v_lshrrev_b32_e32 v9, v3, v7
	v_lshlrev_b32_e32 v3, v3, v9
	v_cmp_ne_u32_e32 vcc_lo, v3, v7
	v_lshl_or_b32 v7, v6, 12, v2
	v_cndmask_b32_e64 v3, 0, 1, vcc_lo
	v_cmp_gt_i32_e32 vcc_lo, 1, v6
	v_or_b32_e32 v3, v9, v3
	v_cndmask_b32_e32 v3, v7, v3, vcc_lo
	v_and_b32_e32 v7, 7, v3
	v_lshrrev_b32_e32 v3, 2, v3
	v_cmp_lt_i32_e32 vcc_lo, 5, v7
	v_cndmask_b32_e64 v9, 0, 1, vcc_lo
	v_cmp_eq_u32_e32 vcc_lo, 3, v7
	v_cndmask_b32_e64 v7, 0, 1, vcc_lo
	v_cmp_ne_u32_e32 vcc_lo, 0, v2
	v_or_b32_e32 v7, v7, v9
	v_mov_b32_e32 v9, 0x7e00
	v_add_nc_u32_e32 v3, v3, v7
	v_cndmask_b32_e32 v2, 0x7c00, v9, vcc_lo
	v_cmp_gt_i32_e32 vcc_lo, 31, v6
	v_cndmask_b32_e32 v3, 0x7c00, v3, vcc_lo
	v_cmp_eq_u32_e32 vcc_lo, 0x40f, v6
	v_cndmask_b32_e32 v2, v3, v2, vcc_lo
	v_lshrrev_b32_e32 v3, 16, v1
	v_and_or_b32 v2, 0x8000, v3, v2
	global_store_short v[4:5], v2, off
.LBB9_140:
	s_mov_b32 s23, 0
.LBB9_141:
	s_andn2_b32 vcc_lo, exec_lo, s23
	s_cbranch_vccnz .LBB9_157
; %bb.142:
	s_cmp_lt_i32 s22, 2
	s_mov_b32 s23, -1
	s_cbranch_scc1 .LBB9_152
; %bb.143:
	s_cmp_lt_i32 s22, 3
	s_cbranch_scc1 .LBB9_149
; %bb.144:
	s_cmp_gt_i32 s22, 3
	s_cbranch_scc0 .LBB9_146
; %bb.145:
	v_trunc_f64_e32 v[2:3], v[0:1]
	s_mov_b32 s23, 0
	v_ldexp_f64 v[6:7], v[2:3], 0xffffffe0
	v_floor_f64_e32 v[6:7], v[6:7]
	v_fma_f64 v[2:3], 0xc1f00000, v[6:7], v[2:3]
	v_cvt_i32_f64_e32 v7, v[6:7]
	v_cvt_u32_f64_e32 v6, v[2:3]
	global_store_dwordx2 v[4:5], v[6:7], off
.LBB9_146:
	s_andn2_b32 vcc_lo, exec_lo, s23
	s_cbranch_vccnz .LBB9_148
; %bb.147:
	v_cvt_i32_f64_e32 v2, v[0:1]
	global_store_dword v[4:5], v2, off
.LBB9_148:
	s_mov_b32 s23, 0
.LBB9_149:
	s_andn2_b32 vcc_lo, exec_lo, s23
	s_cbranch_vccnz .LBB9_151
; %bb.150:
	v_cvt_i32_f64_e32 v2, v[0:1]
	global_store_short v[4:5], v2, off
.LBB9_151:
	s_mov_b32 s23, 0
.LBB9_152:
	s_andn2_b32 vcc_lo, exec_lo, s23
	s_cbranch_vccnz .LBB9_157
; %bb.153:
	s_cmp_gt_i32 s22, 0
	s_mov_b32 s22, -1
	s_cbranch_scc0 .LBB9_155
; %bb.154:
	v_cvt_i32_f64_e32 v2, v[0:1]
	s_mov_b32 s22, 0
	global_store_byte v[4:5], v2, off
.LBB9_155:
	s_andn2_b32 vcc_lo, exec_lo, s22
	s_cbranch_vccnz .LBB9_157
; %bb.156:
	v_trunc_f64_e32 v[0:1], v[0:1]
	v_ldexp_f64 v[2:3], v[0:1], 0xffffffe0
	v_floor_f64_e32 v[2:3], v[2:3]
	v_fma_f64 v[0:1], 0xc1f00000, v[2:3], v[0:1]
	v_cvt_u32_f64_e32 v0, v[0:1]
	global_store_byte v[4:5], v0, off
.LBB9_157:
.LBB9_158:
	v_add_nc_u32_e32 v8, 0x80, v8
	s_mov_b32 s22, -1
	s_branch .LBB9_269
.LBB9_159:
	s_mov_b32 s1, -1
                                        ; implicit-def: $vgpr3_vgpr4
.LBB9_160:
	s_mov_b32 s23, 0
.LBB9_161:
	s_and_b32 vcc_lo, exec_lo, s23
	s_cbranch_vccz .LBB9_165
; %bb.162:
	s_cmp_eq_u32 s0, 29
	s_cbranch_scc0 .LBB9_164
; %bb.163:
	global_load_dwordx2 v[3:4], v[0:1], off
	s_mov_b32 s22, -1
	s_mov_b32 s1, 0
	s_mov_b32 s23, 0
	s_waitcnt vmcnt(0)
	v_cvt_f64_u32_e32 v[4:5], v4
	v_cvt_f64_u32_e32 v[6:7], v3
	v_ldexp_f64 v[4:5], v[4:5], 32
	v_add_f64 v[3:4], v[4:5], v[6:7]
	s_branch .LBB9_166
.LBB9_164:
	s_mov_b32 s1, -1
                                        ; implicit-def: $vgpr3_vgpr4
.LBB9_165:
	s_mov_b32 s23, 0
.LBB9_166:
	s_and_b32 vcc_lo, exec_lo, s23
	s_cbranch_vccz .LBB9_186
; %bb.167:
	s_cmp_lt_i32 s0, 27
	s_cbranch_scc1 .LBB9_170
; %bb.168:
	s_cmp_gt_i32 s0, 27
	s_cbranch_scc0 .LBB9_171
; %bb.169:
	global_load_dword v3, v[0:1], off
	s_mov_b32 s22, 0
	s_waitcnt vmcnt(0)
	v_cvt_f64_u32_e32 v[3:4], v3
	s_branch .LBB9_172
.LBB9_170:
	s_mov_b32 s22, -1
                                        ; implicit-def: $vgpr3_vgpr4
	s_branch .LBB9_175
.LBB9_171:
	s_mov_b32 s22, -1
                                        ; implicit-def: $vgpr3_vgpr4
.LBB9_172:
	s_andn2_b32 vcc_lo, exec_lo, s22
	s_cbranch_vccnz .LBB9_174
; %bb.173:
	global_load_ushort v3, v[0:1], off
	s_waitcnt vmcnt(0)
	v_cvt_f64_u32_e32 v[3:4], v3
.LBB9_174:
	s_mov_b32 s22, 0
.LBB9_175:
	s_andn2_b32 vcc_lo, exec_lo, s22
	s_cbranch_vccnz .LBB9_185
; %bb.176:
	global_load_ubyte v5, v[0:1], off
	s_mov_b32 s22, 0
	s_mov_b32 s23, exec_lo
	s_waitcnt vmcnt(0)
	v_cmpx_lt_i16_e32 0x7f, v5
	s_xor_b32 s23, exec_lo, s23
	s_cbranch_execz .LBB9_180
; %bb.177:
	s_mov_b32 s22, -1
	s_mov_b32 s36, exec_lo
	v_cmpx_eq_u16_e32 0x80, v5
; %bb.178:
	s_xor_b32 s22, exec_lo, -1
; %bb.179:
	s_or_b32 exec_lo, exec_lo, s36
	s_and_b32 s22, s22, exec_lo
.LBB9_180:
	s_or_saveexec_b32 s23, s23
	v_bfrev_b32_e32 v3, 4
	v_mov_b32_e32 v4, 0x7ff80000
	s_xor_b32 exec_lo, exec_lo, s23
; %bb.181:
	v_cmp_ne_u16_e32 vcc_lo, 0, v5
	v_mov_b32_e32 v3, 0
	v_mov_b32_e32 v4, 0
	s_andn2_b32 s22, s22, exec_lo
	s_and_b32 s36, vcc_lo, exec_lo
	s_or_b32 s22, s22, s36
; %bb.182:
	s_or_b32 exec_lo, exec_lo, s23
	s_and_saveexec_b32 s23, s22
	s_cbranch_execz .LBB9_184
; %bb.183:
	v_and_b32_e32 v3, 0xffff, v5
	v_lshlrev_b32_e32 v5, 24, v5
	v_and_b32_e32 v4, 7, v3
	v_bfe_u32 v9, v3, 3, 4
	v_ffbh_u32_e32 v6, v4
	v_cmp_eq_u32_e32 vcc_lo, 0, v9
	v_min_u32_e32 v6, 32, v6
	v_subrev_nc_u32_e32 v7, 28, v6
	v_sub_nc_u32_e32 v6, 29, v6
	v_lshlrev_b32_e32 v3, v7, v3
	v_cndmask_b32_e32 v6, v9, v6, vcc_lo
	v_and_b32_e32 v3, 7, v3
	v_cndmask_b32_e32 v3, v4, v3, vcc_lo
	v_and_b32_e32 v4, 0x80000000, v5
	v_lshl_add_u32 v5, v6, 23, 0x3b800000
	v_lshlrev_b32_e32 v3, 20, v3
	v_or3_b32 v3, v4, v5, v3
	v_cvt_f64_f32_e32 v[3:4], v3
.LBB9_184:
	s_or_b32 exec_lo, exec_lo, s23
.LBB9_185:
	s_mov_b32 s22, -1
.LBB9_186:
	s_branch .LBB9_219
.LBB9_187:
	s_cmp_gt_i32 s0, 22
	s_cbranch_scc0 .LBB9_199
; %bb.188:
	s_cmp_lt_i32 s0, 24
	s_cbranch_scc1 .LBB9_200
; %bb.189:
	s_cmp_gt_i32 s0, 24
	s_cbranch_scc0 .LBB9_201
; %bb.190:
	global_load_ubyte v5, v[0:1], off
	s_mov_b32 s22, 0
	s_mov_b32 s23, exec_lo
	s_waitcnt vmcnt(0)
	v_cmpx_lt_i16_e32 0x7f, v5
	s_xor_b32 s23, exec_lo, s23
	s_cbranch_execz .LBB9_194
; %bb.191:
	s_mov_b32 s22, -1
	s_mov_b32 s36, exec_lo
	v_cmpx_eq_u16_e32 0x80, v5
; %bb.192:
	s_xor_b32 s22, exec_lo, -1
; %bb.193:
	s_or_b32 exec_lo, exec_lo, s36
	s_and_b32 s22, s22, exec_lo
.LBB9_194:
	s_or_saveexec_b32 s23, s23
	v_bfrev_b32_e32 v3, 4
	v_mov_b32_e32 v4, 0x7ff80000
	s_xor_b32 exec_lo, exec_lo, s23
; %bb.195:
	v_cmp_ne_u16_e32 vcc_lo, 0, v5
	v_mov_b32_e32 v3, 0
	v_mov_b32_e32 v4, 0
	s_andn2_b32 s22, s22, exec_lo
	s_and_b32 s36, vcc_lo, exec_lo
	s_or_b32 s22, s22, s36
; %bb.196:
	s_or_b32 exec_lo, exec_lo, s23
	s_and_saveexec_b32 s23, s22
	s_cbranch_execz .LBB9_198
; %bb.197:
	v_and_b32_e32 v3, 0xffff, v5
	v_lshlrev_b32_e32 v5, 24, v5
	v_and_b32_e32 v4, 3, v3
	v_bfe_u32 v9, v3, 2, 5
	v_ffbh_u32_e32 v6, v4
	v_cmp_eq_u32_e32 vcc_lo, 0, v9
	v_min_u32_e32 v6, 32, v6
	v_subrev_nc_u32_e32 v7, 29, v6
	v_sub_nc_u32_e32 v6, 30, v6
	v_lshlrev_b32_e32 v3, v7, v3
	v_cndmask_b32_e32 v6, v9, v6, vcc_lo
	v_and_b32_e32 v3, 3, v3
	v_cndmask_b32_e32 v3, v4, v3, vcc_lo
	v_and_b32_e32 v4, 0x80000000, v5
	v_lshl_add_u32 v5, v6, 23, 0x37800000
	v_lshlrev_b32_e32 v3, 21, v3
	v_or3_b32 v3, v4, v5, v3
	v_cvt_f64_f32_e32 v[3:4], v3
.LBB9_198:
	s_or_b32 exec_lo, exec_lo, s23
	s_mov_b32 s22, 0
	s_branch .LBB9_202
.LBB9_199:
	s_mov_b32 s23, -1
                                        ; implicit-def: $vgpr3_vgpr4
	s_branch .LBB9_208
.LBB9_200:
	s_mov_b32 s22, -1
                                        ; implicit-def: $vgpr3_vgpr4
	s_branch .LBB9_205
.LBB9_201:
	s_mov_b32 s22, -1
                                        ; implicit-def: $vgpr3_vgpr4
.LBB9_202:
	s_and_b32 vcc_lo, exec_lo, s22
	s_cbranch_vccz .LBB9_204
; %bb.203:
	global_load_ubyte v3, v[0:1], off
	s_waitcnt vmcnt(0)
	v_lshlrev_b32_e32 v3, 24, v3
	v_and_b32_e32 v4, 0x7f000000, v3
	v_ffbh_u32_e32 v5, v4
	v_add_nc_u32_e32 v7, 0x1000000, v4
	v_cmp_ne_u32_e32 vcc_lo, 0, v4
	v_min_u32_e32 v5, 32, v5
	v_sub_nc_u32_e64 v5, v5, 4 clamp
	v_lshlrev_b32_e32 v6, v5, v4
	v_lshlrev_b32_e32 v5, 23, v5
	v_lshrrev_b32_e32 v6, 4, v6
	v_sub_nc_u32_e32 v5, v6, v5
	v_ashrrev_i32_e32 v6, 8, v7
	v_add_nc_u32_e32 v5, 0x3c000000, v5
	v_and_or_b32 v5, 0x7f800000, v6, v5
	v_cndmask_b32_e32 v4, 0, v5, vcc_lo
	v_and_or_b32 v3, 0x80000000, v3, v4
	v_cvt_f64_f32_e32 v[3:4], v3
.LBB9_204:
	s_mov_b32 s22, 0
.LBB9_205:
	s_andn2_b32 vcc_lo, exec_lo, s22
	s_cbranch_vccnz .LBB9_207
; %bb.206:
	global_load_ubyte v3, v[0:1], off
	s_waitcnt vmcnt(0)
	v_lshlrev_b32_e32 v4, 25, v3
	v_lshlrev_b16 v3, 8, v3
	v_lshrrev_b32_e32 v5, 4, v4
	v_and_or_b32 v6, 0x7f00, v3, 0.5
	v_cmp_gt_u32_e32 vcc_lo, 0x8000000, v4
	v_bfe_i32 v3, v3, 0, 16
	v_or_b32_e32 v5, 0x70000000, v5
	v_add_f32_e32 v6, -0.5, v6
	v_mul_f32_e32 v5, 0x7800000, v5
	v_cndmask_b32_e32 v4, v5, v6, vcc_lo
	v_and_or_b32 v3, 0x80000000, v3, v4
	v_cvt_f64_f32_e32 v[3:4], v3
.LBB9_207:
	s_mov_b32 s23, 0
	s_mov_b32 s22, -1
.LBB9_208:
	s_andn2_b32 vcc_lo, exec_lo, s23
	s_cbranch_vccnz .LBB9_219
; %bb.209:
	s_cmp_gt_i32 s0, 14
	s_cbranch_scc0 .LBB9_212
; %bb.210:
	s_cmp_eq_u32 s0, 15
	s_cbranch_scc0 .LBB9_213
; %bb.211:
	global_load_ushort v3, v[0:1], off
	s_mov_b32 s22, -1
	s_mov_b32 s1, 0
	s_waitcnt vmcnt(0)
	v_lshlrev_b32_e32 v3, 16, v3
	v_cvt_f64_f32_e32 v[3:4], v3
	s_branch .LBB9_214
.LBB9_212:
	s_mov_b32 s23, -1
                                        ; implicit-def: $vgpr3_vgpr4
	s_branch .LBB9_215
.LBB9_213:
	s_mov_b32 s1, -1
                                        ; implicit-def: $vgpr3_vgpr4
.LBB9_214:
	s_mov_b32 s23, 0
.LBB9_215:
	s_and_b32 vcc_lo, exec_lo, s23
	s_cbranch_vccz .LBB9_219
; %bb.216:
	s_cmp_eq_u32 s0, 11
	s_cbranch_scc0 .LBB9_218
; %bb.217:
	global_load_ubyte v3, v[0:1], off
	s_mov_b32 s1, 0
	s_mov_b32 s22, -1
	s_waitcnt vmcnt(0)
	v_cmp_ne_u16_e32 vcc_lo, 0, v3
	v_mov_b32_e32 v3, 0
	v_cndmask_b32_e64 v4, 0, 0x3ff00000, vcc_lo
	s_branch .LBB9_219
.LBB9_218:
	s_mov_b32 s1, -1
                                        ; implicit-def: $vgpr3_vgpr4
.LBB9_219:
	s_branch .LBB9_24
.LBB9_220:
	s_cmp_lt_i32 s0, 5
	s_cbranch_scc1 .LBB9_225
; %bb.221:
	s_cmp_lt_i32 s0, 8
	s_cbranch_scc1 .LBB9_226
; %bb.222:
	;; [unrolled: 3-line block ×3, first 2 shown]
	s_cmp_gt_i32 s0, 9
	s_cbranch_scc0 .LBB9_228
; %bb.224:
	global_load_dwordx2 v[3:4], v[0:1], off
	s_mov_b32 s22, 0
	s_branch .LBB9_229
.LBB9_225:
                                        ; implicit-def: $vgpr3_vgpr4
	s_branch .LBB9_247
.LBB9_226:
	s_mov_b32 s22, -1
                                        ; implicit-def: $vgpr3_vgpr4
	s_branch .LBB9_235
.LBB9_227:
	s_mov_b32 s22, -1
                                        ; implicit-def: $vgpr3_vgpr4
	s_branch .LBB9_232
.LBB9_228:
	s_mov_b32 s22, -1
                                        ; implicit-def: $vgpr3_vgpr4
.LBB9_229:
	s_andn2_b32 vcc_lo, exec_lo, s22
	s_cbranch_vccnz .LBB9_231
; %bb.230:
	global_load_dword v3, v[0:1], off
	s_waitcnt vmcnt(0)
	v_cvt_f64_f32_e32 v[3:4], v3
.LBB9_231:
	s_mov_b32 s22, 0
.LBB9_232:
	s_andn2_b32 vcc_lo, exec_lo, s22
	s_cbranch_vccnz .LBB9_234
; %bb.233:
	global_load_dword v3, v[0:1], off
	s_waitcnt vmcnt(0)
	v_cvt_f32_f16_e32 v3, v3
	v_cvt_f64_f32_e32 v[3:4], v3
.LBB9_234:
	s_mov_b32 s22, 0
.LBB9_235:
	s_andn2_b32 vcc_lo, exec_lo, s22
	s_cbranch_vccnz .LBB9_246
; %bb.236:
	s_cmp_lt_i32 s0, 6
	s_cbranch_scc1 .LBB9_239
; %bb.237:
	s_cmp_gt_i32 s0, 6
	s_cbranch_scc0 .LBB9_240
; %bb.238:
	global_load_dwordx2 v[3:4], v[0:1], off
	s_mov_b32 s22, 0
	s_branch .LBB9_241
.LBB9_239:
	s_mov_b32 s22, -1
                                        ; implicit-def: $vgpr3_vgpr4
	s_branch .LBB9_244
.LBB9_240:
	s_mov_b32 s22, -1
                                        ; implicit-def: $vgpr3_vgpr4
.LBB9_241:
	s_andn2_b32 vcc_lo, exec_lo, s22
	s_cbranch_vccnz .LBB9_243
; %bb.242:
	global_load_dword v3, v[0:1], off
	s_waitcnt vmcnt(0)
	v_cvt_f64_f32_e32 v[3:4], v3
.LBB9_243:
	s_mov_b32 s22, 0
.LBB9_244:
	s_andn2_b32 vcc_lo, exec_lo, s22
	s_cbranch_vccnz .LBB9_246
; %bb.245:
	global_load_ushort v3, v[0:1], off
	s_waitcnt vmcnt(0)
	v_cvt_f32_f16_e32 v3, v3
	v_cvt_f64_f32_e32 v[3:4], v3
.LBB9_246:
	s_cbranch_execnz .LBB9_266
.LBB9_247:
	s_cmp_lt_i32 s0, 2
	s_cbranch_scc1 .LBB9_251
; %bb.248:
	s_cmp_lt_i32 s0, 3
	s_cbranch_scc1 .LBB9_252
; %bb.249:
	s_cmp_gt_i32 s0, 3
	s_cbranch_scc0 .LBB9_253
; %bb.250:
	global_load_dwordx2 v[3:4], v[0:1], off
	s_mov_b32 s22, 0
	s_waitcnt vmcnt(0)
	v_cvt_f64_i32_e32 v[4:5], v4
	v_cvt_f64_u32_e32 v[6:7], v3
	v_ldexp_f64 v[4:5], v[4:5], 32
	v_add_f64 v[3:4], v[4:5], v[6:7]
	s_branch .LBB9_254
.LBB9_251:
	s_mov_b32 s22, -1
                                        ; implicit-def: $vgpr3_vgpr4
	s_branch .LBB9_260
.LBB9_252:
	s_mov_b32 s22, -1
                                        ; implicit-def: $vgpr3_vgpr4
	s_branch .LBB9_257
.LBB9_253:
	s_mov_b32 s22, -1
                                        ; implicit-def: $vgpr3_vgpr4
.LBB9_254:
	s_andn2_b32 vcc_lo, exec_lo, s22
	s_cbranch_vccnz .LBB9_256
; %bb.255:
	global_load_dword v3, v[0:1], off
	s_waitcnt vmcnt(0)
	v_cvt_f64_i32_e32 v[3:4], v3
.LBB9_256:
	s_mov_b32 s22, 0
.LBB9_257:
	s_andn2_b32 vcc_lo, exec_lo, s22
	s_cbranch_vccnz .LBB9_259
; %bb.258:
	global_load_sshort v3, v[0:1], off
	s_waitcnt vmcnt(0)
	v_cvt_f64_i32_e32 v[3:4], v3
.LBB9_259:
	s_mov_b32 s22, 0
.LBB9_260:
	s_andn2_b32 vcc_lo, exec_lo, s22
	s_cbranch_vccnz .LBB9_266
; %bb.261:
	s_cmp_gt_i32 s0, 0
	s_mov_b32 s0, 0
	s_cbranch_scc0 .LBB9_263
; %bb.262:
	global_load_sbyte v3, v[0:1], off
	s_waitcnt vmcnt(0)
	v_cvt_f64_i32_e32 v[3:4], v3
	s_branch .LBB9_264
.LBB9_263:
	s_mov_b32 s0, -1
                                        ; implicit-def: $vgpr3_vgpr4
.LBB9_264:
	s_andn2_b32 vcc_lo, exec_lo, s0
	s_cbranch_vccnz .LBB9_266
; %bb.265:
	global_load_ubyte v0, v[0:1], off
	s_waitcnt vmcnt(0)
	v_cvt_f64_u32_e32 v[3:4], v0
.LBB9_266:
	s_branch .LBB9_25
.LBB9_267:
	s_mov_b32 s0, 0
.LBB9_268:
	s_mov_b32 s22, 0
                                        ; implicit-def: $vgpr8
.LBB9_269:
	s_and_b32 s36, s0, exec_lo
	s_and_b32 s37, s1, exec_lo
	s_orn2_b32 s1, s22, exec_lo
.LBB9_270:
	s_or_b32 exec_lo, exec_lo, s38
	s_mov_b32 s22, 0
	s_mov_b32 s0, 0
                                        ; implicit-def: $vgpr0_vgpr1
                                        ; implicit-def: $vgpr2
                                        ; implicit-def: $vgpr3_vgpr4
	s_and_saveexec_b32 s38, s1
	s_cbranch_execz .LBB9_277
; %bb.271:
	s_mov_b32 s0, -1
	s_mov_b32 s39, s37
	s_mov_b32 s40, s36
	s_mov_b32 s41, exec_lo
	v_cmpx_gt_i32_e64 s33, v8
	s_cbranch_execz .LBB9_551
; %bb.272:
	s_andn2_b32 vcc_lo, exec_lo, s27
	s_cbranch_vccnz .LBB9_280
; %bb.273:
	s_andn2_b32 vcc_lo, exec_lo, s34
	s_cbranch_vccnz .LBB9_281
; %bb.274:
	s_add_i32 s40, s35, 1
	s_cmp_eq_u32 s25, 2
	s_cbranch_scc1 .LBB9_282
; %bb.275:
	v_mov_b32_e32 v0, 0
	v_mov_b32_e32 v2, 0
	;; [unrolled: 1-line block ×3, first 2 shown]
	s_and_b32 s39, s40, 28
	s_mov_b32 s42, 0
	s_mov_b64 s[0:1], s[2:3]
	s_mov_b64 s[22:23], s[20:21]
.LBB9_276:                              ; =>This Inner Loop Header: Depth=1
	s_clause 0x1
	s_load_dwordx8 s[44:51], s[0:1], 0x4
	s_load_dwordx4 s[60:63], s[0:1], 0x24
	s_load_dwordx8 s[52:59], s[22:23], 0x0
	s_add_u32 s0, s0, 48
	s_addc_u32 s1, s1, 0
	s_add_i32 s42, s42, 4
	s_add_u32 s22, s22, 32
	s_addc_u32 s23, s23, 0
	s_cmp_eq_u32 s39, s42
	s_waitcnt vmcnt(0) lgkmcnt(0)
	v_mul_hi_u32 v3, s45, v1
	v_add_nc_u32_e32 v3, v1, v3
	v_lshrrev_b32_e32 v3, s46, v3
	v_mul_hi_u32 v4, s48, v3
	v_mul_lo_u32 v6, v3, s44
	v_add_nc_u32_e32 v4, v3, v4
	v_sub_nc_u32_e32 v1, v1, v6
	v_lshrrev_b32_e32 v4, s49, v4
	v_mul_lo_u32 v6, v1, s52
	v_mul_lo_u32 v9, v1, s53
	v_mul_hi_u32 v5, s51, v4
	v_add_nc_u32_e32 v5, v4, v5
	v_lshrrev_b32_e32 v5, s60, v5
	v_mul_hi_u32 v7, s62, v5
	v_mul_lo_u32 v10, v5, s50
	v_add_nc_u32_e32 v1, v5, v7
	v_mul_lo_u32 v7, v4, s47
	v_sub_nc_u32_e32 v4, v4, v10
	v_lshrrev_b32_e32 v1, s63, v1
	v_mul_lo_u32 v10, v4, s56
	v_mul_lo_u32 v4, v4, s57
	v_sub_nc_u32_e32 v3, v3, v7
	v_mul_lo_u32 v11, v1, s61
	v_mul_lo_u32 v7, v3, s54
	;; [unrolled: 1-line block ×3, first 2 shown]
	v_sub_nc_u32_e32 v5, v5, v11
	v_add3_u32 v2, v6, v2, v7
	v_mul_lo_u32 v11, v5, s58
	v_mul_lo_u32 v5, v5, s59
	v_add3_u32 v0, v9, v0, v3
	v_add3_u32 v2, v10, v2, v11
	;; [unrolled: 1-line block ×3, first 2 shown]
	s_cbranch_scc0 .LBB9_276
	s_branch .LBB9_283
.LBB9_277:
	s_or_b32 exec_lo, exec_lo, s38
	s_mov_b32 s1, 0
	s_waitcnt lgkmcnt(0)
	s_and_saveexec_b32 s6, s37
	s_cbranch_execnz .LBB9_933
.LBB9_278:
	s_or_b32 exec_lo, exec_lo, s6
	s_and_saveexec_b32 s6, s39
	s_xor_b32 s6, exec_lo, s6
	s_cbranch_execz .LBB9_934
.LBB9_279:
	global_load_ubyte v3, v[0:1], off
	s_or_b32 s0, s0, exec_lo
	s_waitcnt vmcnt(0)
	v_cmp_ne_u16_e32 vcc_lo, 0, v3
	v_mov_b32_e32 v3, 0
	v_cndmask_b32_e64 v4, 0, 0x3ff00000, vcc_lo
	s_or_b32 exec_lo, exec_lo, s6
	s_and_saveexec_b32 s6, s22
	s_cbranch_execz .LBB9_980
	s_branch .LBB9_935
.LBB9_280:
                                        ; implicit-def: $vgpr2
                                        ; implicit-def: $vgpr0
	s_andn2_b32 vcc_lo, exec_lo, s0
	s_cbranch_vccz .LBB9_287
	s_branch .LBB9_289
.LBB9_281:
	v_mov_b32_e32 v2, 0
	v_mov_b32_e32 v0, 0
	s_branch .LBB9_286
.LBB9_282:
	v_mov_b32_e32 v2, 0
	v_mov_b32_e32 v0, 0
	;; [unrolled: 1-line block ×3, first 2 shown]
	s_mov_b32 s39, 0
.LBB9_283:
	s_and_b32 s40, s40, 3
	s_cmp_eq_u32 s40, 0
	s_cbranch_scc1 .LBB9_286
; %bb.284:
	s_lshl_b32 s0, s39, 3
	s_mul_i32 s22, s39, 12
	s_add_u32 s0, s2, s0
	s_addc_u32 s1, s3, 0
	s_add_u32 s0, s0, 0xc4
	s_addc_u32 s1, s1, 0
	;; [unrolled: 2-line block ×3, first 2 shown]
	.p2align	6
.LBB9_285:                              ; =>This Inner Loop Header: Depth=1
	s_clause 0x1
	s_load_dwordx2 s[42:43], s[22:23], 0x4
	s_load_dword s39, s[22:23], 0xc
	s_load_dwordx2 s[44:45], s[0:1], 0x0
	s_add_u32 s22, s22, 12
	s_addc_u32 s23, s23, 0
	s_add_u32 s0, s0, 8
	s_addc_u32 s1, s1, 0
	s_add_i32 s40, s40, -1
	s_cmp_lg_u32 s40, 0
	s_waitcnt vmcnt(0) lgkmcnt(0)
	v_mul_hi_u32 v3, s43, v1
	v_add_nc_u32_e32 v3, v1, v3
	v_lshrrev_b32_e32 v4, s39, v3
	v_mul_lo_u32 v3, v4, s42
	v_sub_nc_u32_e32 v1, v1, v3
	v_mad_u64_u32 v[2:3], null, v1, s44, v[2:3]
	v_mad_u64_u32 v[0:1], null, v1, s45, v[0:1]
	v_mov_b32_e32 v1, v4
	s_cbranch_scc1 .LBB9_285
.LBB9_286:
	s_cbranch_execnz .LBB9_289
.LBB9_287:
	s_waitcnt lgkmcnt(0)
	v_mul_hi_u32 v0, s17, v8
	s_andn2_b32 vcc_lo, exec_lo, s31
	v_add_nc_u32_e32 v0, v8, v0
	v_lshrrev_b32_e32 v1, s18, v0
	v_mul_lo_u32 v0, v1, s16
	v_sub_nc_u32_e32 v0, v8, v0
	v_mul_lo_u32 v2, v0, s12
	v_mul_lo_u32 v0, v0, s13
	s_cbranch_vccnz .LBB9_289
; %bb.288:
	s_waitcnt vmcnt(0)
	v_mul_hi_u32 v3, s6, v1
	v_add_nc_u32_e32 v3, v1, v3
	v_lshrrev_b32_e32 v3, s7, v3
	v_mul_lo_u32 v3, v3, s19
	v_sub_nc_u32_e32 v1, v1, v3
	v_mad_u64_u32 v[2:3], null, v1, s14, v[2:3]
	v_mad_u64_u32 v[0:1], null, v1, s15, v[0:1]
.LBB9_289:
	s_waitcnt lgkmcnt(0)
	v_add_co_u32 v0, s0, s10, v0
	v_add_co_ci_u32_e64 v1, null, s11, 0, s0
	s_and_b32 s0, 0xffff, s30
	s_cmp_lt_i32 s0, 11
	s_cbranch_scc1 .LBB9_296
; %bb.290:
	s_cmp_gt_i32 s0, 25
	s_cbranch_scc0 .LBB9_309
; %bb.291:
	s_cmp_gt_i32 s0, 28
	s_cbranch_scc0 .LBB9_311
	;; [unrolled: 3-line block ×4, first 2 shown]
; %bb.294:
	s_cmp_eq_u32 s0, 46
	s_mov_b32 s23, 0
	s_cbranch_scc0 .LBB9_321
; %bb.295:
	global_load_dword v3, v[0:1], off
	s_mov_b32 s22, -1
	s_mov_b32 s1, 0
	s_waitcnt vmcnt(0)
	v_lshlrev_b32_e32 v3, 16, v3
	v_cvt_f64_f32_e32 v[3:4], v3
	s_branch .LBB9_323
.LBB9_296:
	s_mov_b32 s22, 0
	s_mov_b32 s1, s37
                                        ; implicit-def: $vgpr3_vgpr4
	s_cbranch_execnz .LBB9_500
.LBB9_297:
	s_andn2_b32 vcc_lo, exec_lo, s22
	s_cbranch_vccnz .LBB9_548
.LBB9_298:
	s_waitcnt vmcnt(0)
	v_cmp_ge_f64_e64 s0, 0x40200000, |v[3:4]|
                                        ; implicit-def: $vgpr0_vgpr1
	s_and_saveexec_b32 s22, s0
	s_xor_b32 s0, exec_lo, s22
	s_cbranch_execz .LBB9_300
; %bb.299:
	v_fma_f64 v[0:1], |v[3:4]|, 0.5, -2.0
	s_mov_b32 s22, 0x977da589
	s_mov_b32 s23, 0x3c833362
	;; [unrolled: 1-line block ×4, first 2 shown]
	v_fma_f64 v[5:6], v[0:1], s[42:43], s[22:23]
	s_mov_b32 s43, 0x3c545cb7
	s_mov_b32 s22, 0x721ebbb4
	;; [unrolled: 1-line block ×3, first 2 shown]
	v_fma_f64 v[9:10], v[0:1], v[5:6], s[42:43]
	s_mov_b32 s42, 0x3b39803f
	s_mov_b32 s43, 0xbc7abc9e
	v_add_f64 v[9:10], v[9:10], s[22:23]
	s_mov_b32 s22, 0x93f65eba
	s_mov_b32 s23, 0x3cdee6d8
	v_fma_f64 v[5:6], v[0:1], v[9:10], -v[5:6]
	v_add_f64 v[5:6], v[5:6], s[22:23]
	s_mov_b32 s22, 0xc297fbeb
	s_mov_b32 s23, 0xbd0a5022
	v_fma_f64 v[9:10], v[0:1], v[5:6], -v[9:10]
	;; [unrolled: 4-line block ×20, first 2 shown]
	v_add_f64 v[9:10], v[9:10], s[22:23]
	s_mov_b32 s22, 0x652b82fe
	s_mov_b32 s23, 0x3ff71547
	v_mul_f64 v[11:12], |v[3:4]|, s[22:23]
	s_mov_b32 s22, 0xf3dde3dd
	s_mov_b32 s23, 0x3f859961
	v_fma_f64 v[5:6], v[0:1], v[9:10], -v[5:6]
	v_rndne_f64_e32 v[11:12], v[11:12]
	v_add_f64 v[5:6], v[5:6], s[22:23]
	s_mov_b32 s22, 0xfefa39ef
	s_mov_b32 s23, 0xbfe62e42
	v_fma_f64 v[3:4], v[11:12], s[22:23], |v[3:4]|
	s_mov_b32 s22, 0xf121b6f0
	s_mov_b32 s23, 0xbf984e9e
	v_cvt_i32_f64_e32 v7, v[11:12]
	v_fma_f64 v[9:10], v[0:1], v[5:6], -v[9:10]
	v_fma_f64 v[3:4], v[11:12], s[42:43], v[3:4]
	s_mov_b32 s42, 0x6a5dcb37
	s_mov_b32 s43, 0x3e5ade15
	v_add_f64 v[9:10], v[9:10], s[22:23]
	s_mov_b32 s22, 0xfca7ab0c
	s_mov_b32 s23, 0x3e928af3
	v_fma_f64 v[13:14], v[3:4], s[42:43], s[22:23]
	s_mov_b32 s22, 0xcea8a32d
	s_mov_b32 s42, 0x623fde64
	;; [unrolled: 1-line block ×4, first 2 shown]
	v_fma_f64 v[5:6], v[0:1], v[9:10], -v[5:6]
	v_fma_f64 v[13:14], v[3:4], v[13:14], s[42:43]
	s_mov_b32 s42, 0x14761f6e
	s_mov_b32 s43, 0x3f2a01a0
	v_add_f64 v[5:6], v[5:6], s[22:23]
	s_mov_b32 s22, 0x7c89e6b0
	s_mov_b32 s23, 0x3efa0199
	v_fma_f64 v[13:14], v[3:4], v[13:14], s[22:23]
	s_mov_b32 s22, 0x342d06ea
	s_mov_b32 s23, 0xbfb84b70
	v_fma_f64 v[9:10], v[0:1], v[5:6], -v[9:10]
	v_fma_f64 v[13:14], v[3:4], v[13:14], s[42:43]
	s_mov_b32 s42, 0x11122322
	s_mov_b32 s43, 0x3f811111
	v_add_f64 v[9:10], v[9:10], s[22:23]
	s_mov_b32 s22, 0x1852b7b0
	s_mov_b32 s23, 0x3f56c16c
	v_fma_f64 v[13:14], v[3:4], v[13:14], s[22:23]
	s_mov_b32 s22, 0x77ac88c0
	s_mov_b32 s23, 0x3fc5f7ac
	;; [unrolled: 10-line block ×3, first 2 shown]
	v_fma_f64 v[9:10], v[0:1], v[5:6], -v[9:10]
	v_fma_f64 v[13:14], v[3:4], v[13:14], s[42:43]
	v_add_f64 v[9:10], v[9:10], s[22:23]
	s_mov_b32 s22, 11
	s_mov_b32 s23, 0x3fe00000
	v_fma_f64 v[13:14], v[3:4], v[13:14], s[22:23]
	s_mov_b32 s22, 0x9035a22a
	s_mov_b32 s23, 0x3fe5a84e
	v_fma_f64 v[0:1], v[0:1], v[9:10], -v[5:6]
	v_fma_f64 v[9:10], v[3:4], v[13:14], 1.0
	v_add_f64 v[0:1], v[0:1], s[22:23]
	v_fma_f64 v[3:4], v[3:4], v[9:10], 1.0
	v_add_f64 v[0:1], v[0:1], -v[5:6]
	v_ldexp_f64 v[3:4], v[3:4], v7
	v_mul_f64 v[0:1], v[0:1], 0.5
	v_mul_f64 v[0:1], v[3:4], v[0:1]
                                        ; implicit-def: $vgpr3_vgpr4
.LBB9_300:
	s_andn2_saveexec_b32 s22, s0
	s_cbranch_execz .LBB9_302
; %bb.301:
	v_and_b32_e32 v1, 0x7fffffff, v4
	v_mov_b32_e32 v0, v3
	s_mov_b32 s42, 0x66119130
	s_mov_b32 s43, 0xbc5646da
	;; [unrolled: 1-line block ×4, first 2 shown]
	v_div_scale_f64 v[5:6], null, v[0:1], v[0:1], 0x40400000
	v_div_scale_f64 v[0:1], vcc_lo, 0x40400000, v[0:1], 0x40400000
	v_cmp_gt_f64_e64 s0, 0x10000000, |v[3:4]|
	v_rcp_f64_e32 v[9:10], v[5:6]
	v_cndmask_b32_e64 v7, 0, 0x100, s0
	v_ldexp_f64 v[17:18], |v[3:4]|, v7
	v_fma_f64 v[11:12], -v[5:6], v[9:10], 1.0
	v_rsq_f64_e32 v[19:20], v[17:18]
	v_fma_f64 v[9:10], v[9:10], v[11:12], v[9:10]
	v_mul_f64 v[21:22], v[17:18], v[19:20]
	v_mul_f64 v[19:20], v[19:20], 0.5
	v_fma_f64 v[11:12], -v[5:6], v[9:10], 1.0
	v_fma_f64 v[23:24], -v[19:20], v[21:22], 0.5
	v_fma_f64 v[9:10], v[9:10], v[11:12], v[9:10]
	v_fma_f64 v[21:22], v[21:22], v[23:24], v[21:22]
	;; [unrolled: 1-line block ×3, first 2 shown]
	v_mul_f64 v[11:12], v[0:1], v[9:10]
	v_fma_f64 v[23:24], -v[21:22], v[21:22], v[17:18]
	v_fma_f64 v[0:1], -v[5:6], v[11:12], v[0:1]
	v_div_fmas_f64 v[0:1], v[0:1], v[9:10], v[11:12]
	v_cmp_nlt_f64_e64 vcc_lo, 0x40900000, |v[3:4]|
	v_div_fixup_f64 v[0:1], v[0:1], |v[3:4]|, 0x40400000
	v_add_f64 v[0:1], v[0:1], -2.0
	v_fma_f64 v[5:6], v[0:1], s[44:45], s[42:43]
	s_mov_b32 s45, 0x3c60adb7
	s_mov_b32 s42, 0x12d98421
	;; [unrolled: 1-line block ×3, first 2 shown]
	v_fma_f64 v[9:10], v[0:1], v[5:6], s[44:45]
	s_mov_b32 s44, 0x6a5dcb37
	s_mov_b32 s45, 0x3e5ade15
	v_add_f64 v[9:10], v[9:10], s[42:43]
	s_mov_b32 s42, 0x76041cd
	s_mov_b32 s43, 0x3c83f3dd
	v_fma_f64 v[5:6], v[0:1], v[9:10], -v[5:6]
	v_add_f64 v[5:6], v[5:6], s[42:43]
	s_mov_b32 s42, 0xabd21fe4
	s_mov_b32 s43, 0xbcb4600b
	v_fma_f64 v[9:10], v[0:1], v[5:6], -v[9:10]
	;; [unrolled: 4-line block ×15, first 2 shown]
	v_add_f64 v[5:6], v[5:6], s[42:43]
	s_mov_b32 s42, 0x652b82fe
	s_mov_b32 s43, 0x3ff71547
	v_mul_f64 v[11:12], |v[3:4]|, s[42:43]
	s_mov_b32 s42, 0xa9225b87
	s_mov_b32 s43, 0x3e2d2c64
	v_fma_f64 v[9:10], v[0:1], v[5:6], -v[9:10]
	v_rndne_f64_e32 v[11:12], v[11:12]
	v_add_f64 v[9:10], v[9:10], s[42:43]
	s_mov_b32 s42, 0xfefa39ef
	s_mov_b32 s43, 0xbfe62e42
	v_fma_f64 v[13:14], v[11:12], s[42:43], |v[3:4]|
	s_mov_b32 s42, 0x3b39803f
	s_mov_b32 s43, 0xbc7abc9e
	v_cvt_i32_f64_e32 v7, v[11:12]
	v_cndmask_b32_e64 v3, 0, 0xffffff80, s0
	v_cmp_class_f64_e64 s0, v[17:18], 0x260
	v_fma_f64 v[5:6], v[0:1], v[9:10], -v[5:6]
	v_fma_f64 v[13:14], v[11:12], s[42:43], v[13:14]
	s_mov_b32 s42, 0x80d6d56d
	s_mov_b32 s43, 0x3e585692
	v_add_f64 v[5:6], v[5:6], s[42:43]
	s_mov_b32 s42, 0xfca7ab0c
	s_mov_b32 s43, 0x3e928af3
	v_fma_f64 v[15:16], v[13:14], s[44:45], s[42:43]
	s_mov_b32 s42, 0x623fde64
	s_mov_b32 s43, 0x3ec71dee
	v_fma_f64 v[9:10], v[0:1], v[5:6], -v[9:10]
	v_fma_f64 v[15:16], v[13:14], v[15:16], s[42:43]
	s_mov_b32 s42, 0xd9cd616e
	s_mov_b32 s43, 0x3e8b8007
	v_add_f64 v[9:10], v[9:10], s[42:43]
	s_mov_b32 s42, 0x7c89e6b0
	s_mov_b32 s43, 0x3efa0199
	v_fma_f64 v[15:16], v[13:14], v[15:16], s[42:43]
	s_mov_b32 s42, 0x14761f6e
	s_mov_b32 s43, 0x3f2a01a0
	;; [unrolled: 10-line block ×5, first 2 shown]
	v_fma_f64 v[0:1], v[0:1], v[5:6], -v[9:10]
	v_fma_f64 v[5:6], v[23:24], v[19:20], v[21:22]
	v_fma_f64 v[15:16], v[13:14], v[15:16], 1.0
	v_add_f64 v[0:1], v[0:1], s[42:43]
	v_fma_f64 v[21:22], -v[5:6], v[5:6], v[17:18]
	v_fma_f64 v[11:12], v[13:14], v[15:16], 1.0
	v_add_f64 v[0:1], v[0:1], -v[9:10]
	v_fma_f64 v[5:6], v[21:22], v[19:20], v[5:6]
	v_ldexp_f64 v[9:10], v[11:12], v7
	v_mul_f64 v[0:1], v[0:1], 0.5
	v_ldexp_f64 v[3:4], v[5:6], v3
	v_cndmask_b32_e32 v6, 0x7ff00000, v10, vcc_lo
	v_cndmask_b32_e32 v5, 0, v9, vcc_lo
	v_mul_f64 v[0:1], v[5:6], v[0:1]
	v_cndmask_b32_e64 v4, v4, v18, s0
	v_cndmask_b32_e64 v3, v3, v17, s0
	v_div_scale_f64 v[5:6], null, v[3:4], v[3:4], v[0:1]
	v_rcp_f64_e32 v[9:10], v[5:6]
	v_fma_f64 v[11:12], -v[5:6], v[9:10], 1.0
	v_fma_f64 v[9:10], v[9:10], v[11:12], v[9:10]
	v_fma_f64 v[11:12], -v[5:6], v[9:10], 1.0
	v_fma_f64 v[9:10], v[9:10], v[11:12], v[9:10]
	v_div_scale_f64 v[11:12], vcc_lo, v[0:1], v[3:4], v[0:1]
	v_mul_f64 v[13:14], v[11:12], v[9:10]
	v_fma_f64 v[5:6], -v[5:6], v[13:14], v[11:12]
	v_div_fmas_f64 v[5:6], v[5:6], v[9:10], v[13:14]
	v_div_fixup_f64 v[0:1], v[5:6], v[3:4], v[0:1]
.LBB9_302:
	s_or_b32 exec_lo, exec_lo, s22
	v_add_co_u32 v4, s0, s8, v2
	v_add_co_ci_u32_e64 v5, null, s9, 0, s0
	s_and_b32 s22, s29, 0xff
	s_cmp_lt_i32 s22, 11
	s_cbranch_scc1 .LBB9_310
; %bb.303:
	s_and_b32 s23, 0xffff, s22
	s_cmp_gt_i32 s23, 25
	s_cbranch_scc0 .LBB9_312
; %bb.304:
	s_cmp_gt_i32 s23, 28
	s_cbranch_scc0 .LBB9_314
; %bb.305:
	;; [unrolled: 3-line block ×4, first 2 shown]
	s_mov_b32 s40, 0
	s_mov_b32 s0, -1
	s_cmp_eq_u32 s23, 46
	s_mov_b32 s39, 0
	s_cbranch_scc0 .LBB9_327
; %bb.308:
	v_cvt_f32_f64_e32 v2, v[0:1]
	s_mov_b32 s39, -1
	s_mov_b32 s0, 0
	v_bfe_u32 v3, v2, 16, 1
	v_cmp_o_f32_e32 vcc_lo, v2, v2
	v_add3_u32 v2, v2, v3, 0x7fff
	v_mov_b32_e32 v3, 0x7fc0
	v_cndmask_b32_sdwa v2, v3, v2, vcc_lo dst_sel:DWORD dst_unused:UNUSED_PAD src0_sel:DWORD src1_sel:WORD_1
	global_store_dword v[4:5], v2, off
	s_branch .LBB9_327
.LBB9_309:
	s_mov_b32 s23, -1
	s_mov_b32 s22, 0
	s_mov_b32 s1, s37
                                        ; implicit-def: $vgpr3_vgpr4
	s_branch .LBB9_466
.LBB9_310:
	s_mov_b32 s23, -1
	s_mov_b32 s39, 0
	s_mov_b32 s0, s36
	s_branch .LBB9_396
.LBB9_311:
	s_mov_b32 s23, -1
	s_mov_b32 s22, 0
	s_mov_b32 s1, s37
                                        ; implicit-def: $vgpr3_vgpr4
	s_branch .LBB9_445
.LBB9_312:
	s_mov_b32 s40, -1
	s_mov_b32 s39, 0
	s_mov_b32 s0, s36
	s_branch .LBB9_354
.LBB9_313:
	s_mov_b32 s23, -1
	s_mov_b32 s22, 0
	s_mov_b32 s1, s37
                                        ; implicit-def: $vgpr3_vgpr4
	s_branch .LBB9_440
.LBB9_314:
	s_mov_b32 s40, -1
	s_mov_b32 s39, 0
	s_mov_b32 s0, s36
	s_branch .LBB9_337
.LBB9_315:
	s_andn2_saveexec_b32 s40, s40
	s_cbranch_execz .LBB9_72
.LBB9_316:
	v_add_f32_e64 v3, 0x46000000, |v2|
	s_andn2_b32 s37, s37, exec_lo
	v_and_b32_e32 v3, 0xff, v3
	v_cmp_ne_u32_e32 vcc_lo, 0, v3
	s_and_b32 s41, vcc_lo, exec_lo
	s_or_b32 s37, s37, s41
	s_or_b32 exec_lo, exec_lo, s40
	v_mov_b32_e32 v6, 0
	s_and_saveexec_b32 s40, s37
	s_cbranch_execnz .LBB9_73
	s_branch .LBB9_74
.LBB9_317:
	s_mov_b32 s23, -1
	s_mov_b32 s22, 0
	s_mov_b32 s1, s37
	s_branch .LBB9_322
.LBB9_318:
	s_mov_b32 s40, -1
	s_mov_b32 s39, 0
	s_mov_b32 s0, s36
	s_branch .LBB9_333
.LBB9_319:
	s_andn2_saveexec_b32 s40, s40
	s_cbranch_execz .LBB9_85
.LBB9_320:
	v_add_f32_e64 v3, 0x42800000, |v2|
	s_andn2_b32 s37, s37, exec_lo
	v_and_b32_e32 v3, 0xff, v3
	v_cmp_ne_u32_e32 vcc_lo, 0, v3
	s_and_b32 s41, vcc_lo, exec_lo
	s_or_b32 s37, s37, s41
	s_or_b32 exec_lo, exec_lo, s40
	v_mov_b32_e32 v6, 0
	s_and_saveexec_b32 s40, s37
	s_cbranch_execnz .LBB9_86
	s_branch .LBB9_87
.LBB9_321:
	s_mov_b32 s1, -1
	s_mov_b32 s22, 0
.LBB9_322:
                                        ; implicit-def: $vgpr3_vgpr4
.LBB9_323:
	s_and_b32 vcc_lo, exec_lo, s23
	s_cbranch_vccz .LBB9_439
; %bb.324:
	s_cmp_eq_u32 s0, 44
	s_cbranch_scc0 .LBB9_438
; %bb.325:
	global_load_ubyte v5, v[0:1], off
	s_mov_b32 s1, 0
	s_mov_b32 s22, -1
	s_waitcnt vmcnt(0)
	v_lshlrev_b32_e32 v3, 23, v5
	v_cmp_ne_u32_e32 vcc_lo, 0xff, v5
	v_cvt_f64_f32_e32 v[3:4], v3
	v_cndmask_b32_e32 v3, 0x20000000, v3, vcc_lo
	v_cndmask_b32_e32 v4, 0x7ff80000, v4, vcc_lo
	v_cmp_ne_u32_e32 vcc_lo, 0, v5
	v_cndmask_b32_e32 v4, 0x38000000, v4, vcc_lo
	v_cndmask_b32_e32 v3, 0, v3, vcc_lo
	s_branch .LBB9_439
.LBB9_326:
	s_mov_b32 s40, -1
	s_mov_b32 s39, 0
	s_mov_b32 s0, s36
.LBB9_327:
	s_and_b32 vcc_lo, exec_lo, s40
	s_cbranch_vccz .LBB9_332
; %bb.328:
	s_cmp_eq_u32 s23, 44
	s_mov_b32 s0, -1
	s_cbranch_scc0 .LBB9_332
; %bb.329:
	v_cvt_f32_f64_e32 v2, v[0:1]
	v_mov_b32_e32 v3, 0xff
	s_mov_b32 s39, exec_lo
	v_bfe_u32 v6, v2, 23, 8
	v_cmpx_ne_u32_e32 0xff, v6
	s_cbranch_execz .LBB9_331
; %bb.330:
	v_and_b32_e32 v3, 0x400000, v2
	v_and_or_b32 v6, 0x3fffff, v2, v6
	v_lshrrev_b32_e32 v2, 23, v2
	v_cmp_ne_u32_e32 vcc_lo, 0, v3
	v_cmp_ne_u32_e64 s0, 0, v6
	s_and_b32 s0, vcc_lo, s0
	v_cndmask_b32_e64 v3, 0, 1, s0
	v_add_nc_u32_e32 v3, v2, v3
.LBB9_331:
	s_or_b32 exec_lo, exec_lo, s39
	s_mov_b32 s39, -1
	s_mov_b32 s0, 0
	global_store_byte v[4:5], v3, off
.LBB9_332:
	s_mov_b32 s40, 0
.LBB9_333:
	s_and_b32 vcc_lo, exec_lo, s40
	s_cbranch_vccz .LBB9_336
; %bb.334:
	s_cmp_eq_u32 s23, 29
	s_mov_b32 s0, -1
	s_cbranch_scc0 .LBB9_336
; %bb.335:
	v_trunc_f64_e32 v[2:3], v[0:1]
	s_mov_b32 s39, -1
	s_mov_b32 s0, 0
	s_mov_b32 s40, 0
	v_ldexp_f64 v[6:7], v[2:3], 0xffffffe0
	v_floor_f64_e32 v[6:7], v[6:7]
	v_fma_f64 v[2:3], 0xc1f00000, v[6:7], v[2:3]
	v_cvt_u32_f64_e32 v7, v[6:7]
	v_cvt_u32_f64_e32 v6, v[2:3]
	global_store_dwordx2 v[4:5], v[6:7], off
	s_branch .LBB9_337
.LBB9_336:
	s_mov_b32 s40, 0
.LBB9_337:
	s_and_b32 vcc_lo, exec_lo, s40
	s_cbranch_vccz .LBB9_353
; %bb.338:
	s_cmp_lt_i32 s23, 27
	s_mov_b32 s39, -1
	s_cbranch_scc1 .LBB9_344
; %bb.339:
	v_cvt_u32_f64_e32 v2, v[0:1]
	s_cmp_gt_i32 s23, 27
	s_cbranch_scc0 .LBB9_341
; %bb.340:
	s_mov_b32 s39, 0
	global_store_dword v[4:5], v2, off
.LBB9_341:
	s_andn2_b32 vcc_lo, exec_lo, s39
	s_cbranch_vccnz .LBB9_343
; %bb.342:
	global_store_short v[4:5], v2, off
.LBB9_343:
	s_mov_b32 s39, 0
.LBB9_344:
	s_andn2_b32 vcc_lo, exec_lo, s39
	s_cbranch_vccnz .LBB9_352
; %bb.345:
	v_cvt_f32_f64_e32 v2, v[0:1]
	v_mov_b32_e32 v6, 0x80
	s_mov_b32 s39, exec_lo
	v_and_b32_e32 v3, 0x7fffffff, v2
	v_cmpx_gt_u32_e32 0x43800000, v3
	s_cbranch_execz .LBB9_351
; %bb.346:
	v_cmp_lt_u32_e32 vcc_lo, 0x3bffffff, v3
	s_mov_b32 s40, 0
                                        ; implicit-def: $vgpr3
	s_and_saveexec_b32 s42, vcc_lo
	s_xor_b32 s42, exec_lo, s42
	s_cbranch_execz .LBB9_579
; %bb.347:
	v_bfe_u32 v3, v2, 20, 1
	s_mov_b32 s40, exec_lo
	v_add3_u32 v3, v2, v3, 0x487ffff
	v_lshrrev_b32_e32 v3, 20, v3
	s_andn2_saveexec_b32 s42, s42
	s_cbranch_execnz .LBB9_580
.LBB9_348:
	s_or_b32 exec_lo, exec_lo, s42
	v_mov_b32_e32 v6, 0
	s_and_saveexec_b32 s42, s40
.LBB9_349:
	v_lshrrev_b32_e32 v2, 24, v2
	v_and_or_b32 v6, 0x80, v2, v3
.LBB9_350:
	s_or_b32 exec_lo, exec_lo, s42
.LBB9_351:
	s_or_b32 exec_lo, exec_lo, s39
	global_store_byte v[4:5], v6, off
.LBB9_352:
	s_mov_b32 s39, -1
.LBB9_353:
	s_mov_b32 s40, 0
.LBB9_354:
	s_and_b32 vcc_lo, exec_lo, s40
	s_cbranch_vccz .LBB9_395
; %bb.355:
	s_cmp_gt_i32 s23, 22
	s_mov_b32 s40, -1
	s_cbranch_scc0 .LBB9_387
; %bb.356:
	s_cmp_lt_i32 s23, 24
	s_mov_b32 s39, -1
	s_cbranch_scc1 .LBB9_376
; %bb.357:
	s_cmp_gt_i32 s23, 24
	s_cbranch_scc0 .LBB9_365
; %bb.358:
	v_cvt_f32_f64_e32 v2, v[0:1]
	v_mov_b32_e32 v6, 0x80
	s_mov_b32 s39, exec_lo
	v_and_b32_e32 v3, 0x7fffffff, v2
	v_cmpx_gt_u32_e32 0x47800000, v3
	s_cbranch_execz .LBB9_364
; %bb.359:
	v_cmp_lt_u32_e32 vcc_lo, 0x37ffffff, v3
	s_mov_b32 s40, 0
                                        ; implicit-def: $vgpr3
	s_and_saveexec_b32 s42, vcc_lo
	s_xor_b32 s42, exec_lo, s42
	s_cbranch_execz .LBB9_582
; %bb.360:
	v_bfe_u32 v3, v2, 21, 1
	s_mov_b32 s40, exec_lo
	v_add3_u32 v3, v2, v3, 0x88fffff
	v_lshrrev_b32_e32 v3, 21, v3
	s_andn2_saveexec_b32 s42, s42
	s_cbranch_execnz .LBB9_583
.LBB9_361:
	s_or_b32 exec_lo, exec_lo, s42
	v_mov_b32_e32 v6, 0
	s_and_saveexec_b32 s42, s40
.LBB9_362:
	v_lshrrev_b32_e32 v2, 24, v2
	v_and_or_b32 v6, 0x80, v2, v3
.LBB9_363:
	s_or_b32 exec_lo, exec_lo, s42
.LBB9_364:
	s_or_b32 exec_lo, exec_lo, s39
	s_mov_b32 s39, 0
	global_store_byte v[4:5], v6, off
.LBB9_365:
	s_and_b32 vcc_lo, exec_lo, s39
	s_cbranch_vccz .LBB9_375
; %bb.366:
	v_cvt_f32_f64_e32 v2, v[0:1]
	s_mov_b32 s39, exec_lo
                                        ; implicit-def: $vgpr3
	v_and_b32_e32 v6, 0x7fffffff, v2
	v_cmpx_gt_u32_e32 0x43f00000, v6
	s_xor_b32 s39, exec_lo, s39
	s_cbranch_execz .LBB9_372
; %bb.367:
	s_mov_b32 s40, exec_lo
                                        ; implicit-def: $vgpr3
	v_cmpx_lt_u32_e32 0x3c7fffff, v6
	s_xor_b32 s40, exec_lo, s40
; %bb.368:
	v_bfe_u32 v3, v2, 20, 1
	v_add3_u32 v3, v2, v3, 0x407ffff
	v_and_b32_e32 v6, 0xff00000, v3
	v_lshrrev_b32_e32 v3, 20, v3
	v_cmp_ne_u32_e32 vcc_lo, 0x7f00000, v6
	v_cndmask_b32_e32 v3, 0x7e, v3, vcc_lo
; %bb.369:
	s_andn2_saveexec_b32 s40, s40
; %bb.370:
	v_add_f32_e64 v3, 0x46800000, |v2|
; %bb.371:
	s_or_b32 exec_lo, exec_lo, s40
                                        ; implicit-def: $vgpr6
.LBB9_372:
	s_andn2_saveexec_b32 s39, s39
; %bb.373:
	v_mov_b32_e32 v3, 0x7f
	v_cmp_lt_u32_e32 vcc_lo, 0x7f800000, v6
	v_cndmask_b32_e32 v3, 0x7e, v3, vcc_lo
; %bb.374:
	s_or_b32 exec_lo, exec_lo, s39
	v_lshrrev_b32_e32 v2, 24, v2
	v_and_or_b32 v2, 0x80, v2, v3
	global_store_byte v[4:5], v2, off
.LBB9_375:
	s_mov_b32 s39, 0
.LBB9_376:
	s_andn2_b32 vcc_lo, exec_lo, s39
	s_cbranch_vccnz .LBB9_386
; %bb.377:
	v_cvt_f32_f64_e32 v2, v[0:1]
	s_mov_b32 s39, exec_lo
                                        ; implicit-def: $vgpr3
	v_and_b32_e32 v6, 0x7fffffff, v2
	v_cmpx_gt_u32_e32 0x47800000, v6
	s_xor_b32 s39, exec_lo, s39
	s_cbranch_execz .LBB9_383
; %bb.378:
	s_mov_b32 s40, exec_lo
                                        ; implicit-def: $vgpr3
	v_cmpx_lt_u32_e32 0x387fffff, v6
	s_xor_b32 s40, exec_lo, s40
; %bb.379:
	v_bfe_u32 v3, v2, 21, 1
	v_add3_u32 v3, v2, v3, 0x80fffff
	v_lshrrev_b32_e32 v3, 21, v3
; %bb.380:
	s_andn2_saveexec_b32 s40, s40
; %bb.381:
	v_add_f32_e64 v3, 0x43000000, |v2|
; %bb.382:
	s_or_b32 exec_lo, exec_lo, s40
                                        ; implicit-def: $vgpr6
.LBB9_383:
	s_andn2_saveexec_b32 s39, s39
; %bb.384:
	v_mov_b32_e32 v3, 0x7f
	v_cmp_lt_u32_e32 vcc_lo, 0x7f800000, v6
	v_cndmask_b32_e32 v3, 0x7c, v3, vcc_lo
; %bb.385:
	s_or_b32 exec_lo, exec_lo, s39
	v_lshrrev_b32_e32 v2, 24, v2
	v_and_or_b32 v2, 0x80, v2, v3
	global_store_byte v[4:5], v2, off
.LBB9_386:
	s_mov_b32 s40, 0
	s_mov_b32 s39, -1
.LBB9_387:
	s_andn2_b32 vcc_lo, exec_lo, s40
	s_cbranch_vccnz .LBB9_395
; %bb.388:
	s_cmp_gt_i32 s23, 14
	s_mov_b32 s40, -1
	s_cbranch_scc0 .LBB9_392
; %bb.389:
	s_cmp_eq_u32 s23, 15
	s_mov_b32 s0, -1
	s_cbranch_scc0 .LBB9_391
; %bb.390:
	v_cvt_f32_f64_e32 v2, v[0:1]
	s_mov_b32 s39, -1
	s_mov_b32 s0, 0
	v_bfe_u32 v3, v2, 16, 1
	v_cmp_o_f32_e32 vcc_lo, v2, v2
	v_add3_u32 v2, v2, v3, 0x7fff
	v_mov_b32_e32 v3, 0x7fc0
	v_cndmask_b32_sdwa v2, v3, v2, vcc_lo dst_sel:DWORD dst_unused:UNUSED_PAD src0_sel:DWORD src1_sel:WORD_1
	global_store_short v[4:5], v2, off
.LBB9_391:
	s_mov_b32 s40, 0
.LBB9_392:
	s_and_b32 vcc_lo, exec_lo, s40
	s_cbranch_vccz .LBB9_395
; %bb.393:
	s_cmp_eq_u32 s23, 11
	s_mov_b32 s0, -1
	s_cbranch_scc0 .LBB9_395
; %bb.394:
	v_cmp_neq_f64_e32 vcc_lo, 0, v[0:1]
	s_mov_b32 s39, -1
	s_mov_b32 s0, 0
	v_cndmask_b32_e64 v2, 0, 1, vcc_lo
	global_store_byte v[4:5], v2, off
.LBB9_395:
	s_mov_b32 s23, 0
.LBB9_396:
	s_and_b32 vcc_lo, exec_lo, s23
	s_cbranch_vccz .LBB9_435
; %bb.397:
	s_and_b32 s22, 0xffff, s22
	s_mov_b32 s23, -1
	s_cmp_lt_i32 s22, 5
	s_cbranch_scc1 .LBB9_418
; %bb.398:
	s_cmp_lt_i32 s22, 8
	s_cbranch_scc1 .LBB9_408
; %bb.399:
	;; [unrolled: 3-line block ×3, first 2 shown]
	s_cmp_gt_i32 s22, 9
	s_cbranch_scc0 .LBB9_402
; %bb.401:
	v_mov_b32_e32 v2, 0
	s_mov_b32 s23, 0
	v_mov_b32_e32 v3, v2
	global_store_dwordx4 v[4:5], v[0:3], off
.LBB9_402:
	s_andn2_b32 vcc_lo, exec_lo, s23
	s_cbranch_vccnz .LBB9_404
; %bb.403:
	v_cvt_f32_f64_e32 v2, v[0:1]
	v_mov_b32_e32 v3, 0
	global_store_dwordx2 v[4:5], v[2:3], off
.LBB9_404:
	s_mov_b32 s23, 0
.LBB9_405:
	s_andn2_b32 vcc_lo, exec_lo, s23
	s_cbranch_vccnz .LBB9_407
; %bb.406:
	v_and_or_b32 v2, 0x1ff, v1, v0
	v_lshrrev_b32_e32 v3, 8, v1
	v_bfe_u32 v6, v1, 20, 11
	v_cmp_ne_u32_e32 vcc_lo, 0, v2
	v_sub_nc_u32_e32 v7, 0x3f1, v6
	v_add_nc_u32_e32 v6, 0xfffffc10, v6
	v_cndmask_b32_e64 v2, 0, 1, vcc_lo
	v_and_or_b32 v2, 0xffe, v3, v2
	v_med3_i32 v3, v7, 0, 13
	v_or_b32_e32 v7, 0x1000, v2
	v_lshrrev_b32_e32 v9, v3, v7
	v_lshlrev_b32_e32 v3, v3, v9
	v_cmp_ne_u32_e32 vcc_lo, v3, v7
	v_lshl_or_b32 v7, v6, 12, v2
	v_cndmask_b32_e64 v3, 0, 1, vcc_lo
	v_cmp_gt_i32_e32 vcc_lo, 1, v6
	v_or_b32_e32 v3, v9, v3
	v_cndmask_b32_e32 v3, v7, v3, vcc_lo
	v_and_b32_e32 v7, 7, v3
	v_lshrrev_b32_e32 v3, 2, v3
	v_cmp_lt_i32_e32 vcc_lo, 5, v7
	v_cndmask_b32_e64 v9, 0, 1, vcc_lo
	v_cmp_eq_u32_e32 vcc_lo, 3, v7
	v_cndmask_b32_e64 v7, 0, 1, vcc_lo
	v_cmp_ne_u32_e32 vcc_lo, 0, v2
	v_or_b32_e32 v7, v7, v9
	v_mov_b32_e32 v9, 0x7e00
	v_add_nc_u32_e32 v3, v3, v7
	v_cndmask_b32_e32 v2, 0x7c00, v9, vcc_lo
	v_cmp_gt_i32_e32 vcc_lo, 31, v6
	v_cndmask_b32_e32 v3, 0x7c00, v3, vcc_lo
	v_cmp_eq_u32_e32 vcc_lo, 0x40f, v6
	v_cndmask_b32_e32 v2, v3, v2, vcc_lo
	v_lshrrev_b32_e32 v3, 16, v1
	v_and_or_b32 v2, 0x8000, v3, v2
	v_and_b32_e32 v2, 0xffff, v2
	global_store_dword v[4:5], v2, off
.LBB9_407:
	s_mov_b32 s23, 0
.LBB9_408:
	s_andn2_b32 vcc_lo, exec_lo, s23
	s_cbranch_vccnz .LBB9_417
; %bb.409:
	s_cmp_lt_i32 s22, 6
	s_mov_b32 s23, -1
	s_cbranch_scc1 .LBB9_415
; %bb.410:
	s_cmp_gt_i32 s22, 6
	s_cbranch_scc0 .LBB9_412
; %bb.411:
	s_mov_b32 s23, 0
	global_store_dwordx2 v[4:5], v[0:1], off
.LBB9_412:
	s_andn2_b32 vcc_lo, exec_lo, s23
	s_cbranch_vccnz .LBB9_414
; %bb.413:
	v_cvt_f32_f64_e32 v2, v[0:1]
	global_store_dword v[4:5], v2, off
.LBB9_414:
	s_mov_b32 s23, 0
.LBB9_415:
	s_andn2_b32 vcc_lo, exec_lo, s23
	s_cbranch_vccnz .LBB9_417
; %bb.416:
	v_and_or_b32 v2, 0x1ff, v1, v0
	v_lshrrev_b32_e32 v3, 8, v1
	v_bfe_u32 v6, v1, 20, 11
	v_cmp_ne_u32_e32 vcc_lo, 0, v2
	v_sub_nc_u32_e32 v7, 0x3f1, v6
	v_add_nc_u32_e32 v6, 0xfffffc10, v6
	v_cndmask_b32_e64 v2, 0, 1, vcc_lo
	v_and_or_b32 v2, 0xffe, v3, v2
	v_med3_i32 v3, v7, 0, 13
	v_or_b32_e32 v7, 0x1000, v2
	v_lshrrev_b32_e32 v9, v3, v7
	v_lshlrev_b32_e32 v3, v3, v9
	v_cmp_ne_u32_e32 vcc_lo, v3, v7
	v_lshl_or_b32 v7, v6, 12, v2
	v_cndmask_b32_e64 v3, 0, 1, vcc_lo
	v_cmp_gt_i32_e32 vcc_lo, 1, v6
	v_or_b32_e32 v3, v9, v3
	v_cndmask_b32_e32 v3, v7, v3, vcc_lo
	v_and_b32_e32 v7, 7, v3
	v_lshrrev_b32_e32 v3, 2, v3
	v_cmp_lt_i32_e32 vcc_lo, 5, v7
	v_cndmask_b32_e64 v9, 0, 1, vcc_lo
	v_cmp_eq_u32_e32 vcc_lo, 3, v7
	v_cndmask_b32_e64 v7, 0, 1, vcc_lo
	v_cmp_ne_u32_e32 vcc_lo, 0, v2
	v_or_b32_e32 v7, v7, v9
	v_mov_b32_e32 v9, 0x7e00
	v_add_nc_u32_e32 v3, v3, v7
	v_cndmask_b32_e32 v2, 0x7c00, v9, vcc_lo
	v_cmp_gt_i32_e32 vcc_lo, 31, v6
	v_cndmask_b32_e32 v3, 0x7c00, v3, vcc_lo
	v_cmp_eq_u32_e32 vcc_lo, 0x40f, v6
	v_cndmask_b32_e32 v2, v3, v2, vcc_lo
	v_lshrrev_b32_e32 v3, 16, v1
	v_and_or_b32 v2, 0x8000, v3, v2
	global_store_short v[4:5], v2, off
.LBB9_417:
	s_mov_b32 s23, 0
.LBB9_418:
	s_andn2_b32 vcc_lo, exec_lo, s23
	s_cbranch_vccnz .LBB9_434
; %bb.419:
	s_cmp_lt_i32 s22, 2
	s_mov_b32 s23, -1
	s_cbranch_scc1 .LBB9_429
; %bb.420:
	s_cmp_lt_i32 s22, 3
	s_cbranch_scc1 .LBB9_426
; %bb.421:
	s_cmp_gt_i32 s22, 3
	s_cbranch_scc0 .LBB9_423
; %bb.422:
	v_trunc_f64_e32 v[2:3], v[0:1]
	s_mov_b32 s23, 0
	v_ldexp_f64 v[6:7], v[2:3], 0xffffffe0
	v_floor_f64_e32 v[6:7], v[6:7]
	v_fma_f64 v[2:3], 0xc1f00000, v[6:7], v[2:3]
	v_cvt_i32_f64_e32 v7, v[6:7]
	v_cvt_u32_f64_e32 v6, v[2:3]
	global_store_dwordx2 v[4:5], v[6:7], off
.LBB9_423:
	s_andn2_b32 vcc_lo, exec_lo, s23
	s_cbranch_vccnz .LBB9_425
; %bb.424:
	v_cvt_i32_f64_e32 v2, v[0:1]
	global_store_dword v[4:5], v2, off
.LBB9_425:
	s_mov_b32 s23, 0
.LBB9_426:
	s_andn2_b32 vcc_lo, exec_lo, s23
	s_cbranch_vccnz .LBB9_428
; %bb.427:
	v_cvt_i32_f64_e32 v2, v[0:1]
	global_store_short v[4:5], v2, off
.LBB9_428:
	s_mov_b32 s23, 0
.LBB9_429:
	s_andn2_b32 vcc_lo, exec_lo, s23
	s_cbranch_vccnz .LBB9_434
; %bb.430:
	s_cmp_gt_i32 s22, 0
	s_mov_b32 s22, -1
	s_cbranch_scc0 .LBB9_432
; %bb.431:
	v_cvt_i32_f64_e32 v2, v[0:1]
	s_mov_b32 s22, 0
	global_store_byte v[4:5], v2, off
.LBB9_432:
	s_andn2_b32 vcc_lo, exec_lo, s22
	s_cbranch_vccnz .LBB9_434
; %bb.433:
	v_trunc_f64_e32 v[0:1], v[0:1]
	v_ldexp_f64 v[2:3], v[0:1], 0xffffffe0
	v_floor_f64_e32 v[2:3], v[2:3]
	v_fma_f64 v[0:1], 0xc1f00000, v[2:3], v[0:1]
	v_cvt_u32_f64_e32 v0, v[0:1]
	global_store_byte v[4:5], v0, off
.LBB9_434:
	s_mov_b32 s39, -1
.LBB9_435:
	s_andn2_b32 vcc_lo, exec_lo, s39
	s_cbranch_vccnz .LBB9_437
; %bb.436:
	v_add_nc_u32_e32 v8, 0x80, v8
	s_mov_b32 s22, -1
	s_branch .LBB9_550
.LBB9_437:
	s_mov_b32 s22, 0
	s_branch .LBB9_549
.LBB9_438:
	s_mov_b32 s1, -1
                                        ; implicit-def: $vgpr3_vgpr4
.LBB9_439:
	s_mov_b32 s23, 0
.LBB9_440:
	s_and_b32 vcc_lo, exec_lo, s23
	s_cbranch_vccz .LBB9_444
; %bb.441:
	s_cmp_eq_u32 s0, 29
	s_cbranch_scc0 .LBB9_443
; %bb.442:
	global_load_dwordx2 v[3:4], v[0:1], off
	s_mov_b32 s22, -1
	s_mov_b32 s1, 0
	s_mov_b32 s23, 0
	s_waitcnt vmcnt(0)
	v_cvt_f64_u32_e32 v[4:5], v4
	v_cvt_f64_u32_e32 v[6:7], v3
	v_ldexp_f64 v[4:5], v[4:5], 32
	v_add_f64 v[3:4], v[4:5], v[6:7]
	s_branch .LBB9_445
.LBB9_443:
	s_mov_b32 s1, -1
                                        ; implicit-def: $vgpr3_vgpr4
.LBB9_444:
	s_mov_b32 s23, 0
.LBB9_445:
	s_and_b32 vcc_lo, exec_lo, s23
	s_cbranch_vccz .LBB9_465
; %bb.446:
	s_cmp_lt_i32 s0, 27
	s_cbranch_scc1 .LBB9_449
; %bb.447:
	s_cmp_gt_i32 s0, 27
	s_cbranch_scc0 .LBB9_450
; %bb.448:
	global_load_dword v3, v[0:1], off
	s_mov_b32 s22, 0
	s_waitcnt vmcnt(0)
	v_cvt_f64_u32_e32 v[3:4], v3
	s_branch .LBB9_451
.LBB9_449:
	s_mov_b32 s22, -1
                                        ; implicit-def: $vgpr3_vgpr4
	s_branch .LBB9_454
.LBB9_450:
	s_mov_b32 s22, -1
                                        ; implicit-def: $vgpr3_vgpr4
.LBB9_451:
	s_andn2_b32 vcc_lo, exec_lo, s22
	s_cbranch_vccnz .LBB9_453
; %bb.452:
	global_load_ushort v3, v[0:1], off
	s_waitcnt vmcnt(0)
	v_cvt_f64_u32_e32 v[3:4], v3
.LBB9_453:
	s_mov_b32 s22, 0
.LBB9_454:
	s_andn2_b32 vcc_lo, exec_lo, s22
	s_cbranch_vccnz .LBB9_464
; %bb.455:
	global_load_ubyte v5, v[0:1], off
	s_mov_b32 s22, 0
	s_mov_b32 s23, exec_lo
	s_waitcnt vmcnt(0)
	v_cmpx_lt_i16_e32 0x7f, v5
	s_xor_b32 s23, exec_lo, s23
	s_cbranch_execz .LBB9_459
; %bb.456:
	s_mov_b32 s22, -1
	s_mov_b32 s39, exec_lo
	v_cmpx_eq_u16_e32 0x80, v5
; %bb.457:
	s_xor_b32 s22, exec_lo, -1
; %bb.458:
	s_or_b32 exec_lo, exec_lo, s39
	s_and_b32 s22, s22, exec_lo
.LBB9_459:
	s_or_saveexec_b32 s23, s23
	v_bfrev_b32_e32 v3, 4
	v_mov_b32_e32 v4, 0x7ff80000
	s_xor_b32 exec_lo, exec_lo, s23
; %bb.460:
	v_cmp_ne_u16_e32 vcc_lo, 0, v5
	v_mov_b32_e32 v3, 0
	v_mov_b32_e32 v4, 0
	s_andn2_b32 s22, s22, exec_lo
	s_and_b32 s39, vcc_lo, exec_lo
	s_or_b32 s22, s22, s39
; %bb.461:
	s_or_b32 exec_lo, exec_lo, s23
	s_and_saveexec_b32 s23, s22
	s_cbranch_execz .LBB9_463
; %bb.462:
	v_and_b32_e32 v3, 0xffff, v5
	v_lshlrev_b32_e32 v5, 24, v5
	v_and_b32_e32 v4, 7, v3
	v_bfe_u32 v9, v3, 3, 4
	v_ffbh_u32_e32 v6, v4
	v_cmp_eq_u32_e32 vcc_lo, 0, v9
	v_min_u32_e32 v6, 32, v6
	v_subrev_nc_u32_e32 v7, 28, v6
	v_sub_nc_u32_e32 v6, 29, v6
	v_lshlrev_b32_e32 v3, v7, v3
	v_cndmask_b32_e32 v6, v9, v6, vcc_lo
	v_and_b32_e32 v3, 7, v3
	v_cndmask_b32_e32 v3, v4, v3, vcc_lo
	v_and_b32_e32 v4, 0x80000000, v5
	v_lshl_add_u32 v5, v6, 23, 0x3b800000
	v_lshlrev_b32_e32 v3, 20, v3
	v_or3_b32 v3, v4, v5, v3
	v_cvt_f64_f32_e32 v[3:4], v3
.LBB9_463:
	s_or_b32 exec_lo, exec_lo, s23
.LBB9_464:
	s_mov_b32 s22, -1
.LBB9_465:
	s_mov_b32 s23, 0
.LBB9_466:
	s_and_b32 vcc_lo, exec_lo, s23
	s_cbranch_vccz .LBB9_499
; %bb.467:
	s_cmp_gt_i32 s0, 22
	s_cbranch_scc0 .LBB9_479
; %bb.468:
	s_cmp_lt_i32 s0, 24
	s_cbranch_scc1 .LBB9_480
; %bb.469:
	s_cmp_gt_i32 s0, 24
	s_cbranch_scc0 .LBB9_481
; %bb.470:
	global_load_ubyte v5, v[0:1], off
	s_mov_b32 s22, 0
	s_mov_b32 s23, exec_lo
	s_waitcnt vmcnt(0)
	v_cmpx_lt_i16_e32 0x7f, v5
	s_xor_b32 s23, exec_lo, s23
	s_cbranch_execz .LBB9_474
; %bb.471:
	s_mov_b32 s22, -1
	s_mov_b32 s39, exec_lo
	v_cmpx_eq_u16_e32 0x80, v5
; %bb.472:
	s_xor_b32 s22, exec_lo, -1
; %bb.473:
	s_or_b32 exec_lo, exec_lo, s39
	s_and_b32 s22, s22, exec_lo
.LBB9_474:
	s_or_saveexec_b32 s23, s23
	v_bfrev_b32_e32 v3, 4
	v_mov_b32_e32 v4, 0x7ff80000
	s_xor_b32 exec_lo, exec_lo, s23
; %bb.475:
	v_cmp_ne_u16_e32 vcc_lo, 0, v5
	v_mov_b32_e32 v3, 0
	v_mov_b32_e32 v4, 0
	s_andn2_b32 s22, s22, exec_lo
	s_and_b32 s39, vcc_lo, exec_lo
	s_or_b32 s22, s22, s39
; %bb.476:
	s_or_b32 exec_lo, exec_lo, s23
	s_and_saveexec_b32 s23, s22
	s_cbranch_execz .LBB9_478
; %bb.477:
	v_and_b32_e32 v3, 0xffff, v5
	v_lshlrev_b32_e32 v5, 24, v5
	v_and_b32_e32 v4, 3, v3
	v_bfe_u32 v9, v3, 2, 5
	v_ffbh_u32_e32 v6, v4
	v_cmp_eq_u32_e32 vcc_lo, 0, v9
	v_min_u32_e32 v6, 32, v6
	v_subrev_nc_u32_e32 v7, 29, v6
	v_sub_nc_u32_e32 v6, 30, v6
	v_lshlrev_b32_e32 v3, v7, v3
	v_cndmask_b32_e32 v6, v9, v6, vcc_lo
	v_and_b32_e32 v3, 3, v3
	v_cndmask_b32_e32 v3, v4, v3, vcc_lo
	v_and_b32_e32 v4, 0x80000000, v5
	v_lshl_add_u32 v5, v6, 23, 0x37800000
	v_lshlrev_b32_e32 v3, 21, v3
	v_or3_b32 v3, v4, v5, v3
	v_cvt_f64_f32_e32 v[3:4], v3
.LBB9_478:
	s_or_b32 exec_lo, exec_lo, s23
	s_mov_b32 s22, 0
	s_branch .LBB9_482
.LBB9_479:
	s_mov_b32 s23, -1
                                        ; implicit-def: $vgpr3_vgpr4
	s_branch .LBB9_488
.LBB9_480:
	s_mov_b32 s22, -1
                                        ; implicit-def: $vgpr3_vgpr4
	s_branch .LBB9_485
.LBB9_481:
	s_mov_b32 s22, -1
                                        ; implicit-def: $vgpr3_vgpr4
.LBB9_482:
	s_and_b32 vcc_lo, exec_lo, s22
	s_cbranch_vccz .LBB9_484
; %bb.483:
	global_load_ubyte v3, v[0:1], off
	s_waitcnt vmcnt(0)
	v_lshlrev_b32_e32 v3, 24, v3
	v_and_b32_e32 v4, 0x7f000000, v3
	v_ffbh_u32_e32 v5, v4
	v_add_nc_u32_e32 v7, 0x1000000, v4
	v_cmp_ne_u32_e32 vcc_lo, 0, v4
	v_min_u32_e32 v5, 32, v5
	v_sub_nc_u32_e64 v5, v5, 4 clamp
	v_lshlrev_b32_e32 v6, v5, v4
	v_lshlrev_b32_e32 v5, 23, v5
	v_lshrrev_b32_e32 v6, 4, v6
	v_sub_nc_u32_e32 v5, v6, v5
	v_ashrrev_i32_e32 v6, 8, v7
	v_add_nc_u32_e32 v5, 0x3c000000, v5
	v_and_or_b32 v5, 0x7f800000, v6, v5
	v_cndmask_b32_e32 v4, 0, v5, vcc_lo
	v_and_or_b32 v3, 0x80000000, v3, v4
	v_cvt_f64_f32_e32 v[3:4], v3
.LBB9_484:
	s_mov_b32 s22, 0
.LBB9_485:
	s_andn2_b32 vcc_lo, exec_lo, s22
	s_cbranch_vccnz .LBB9_487
; %bb.486:
	global_load_ubyte v3, v[0:1], off
	s_waitcnt vmcnt(0)
	v_lshlrev_b32_e32 v4, 25, v3
	v_lshlrev_b16 v3, 8, v3
	v_lshrrev_b32_e32 v5, 4, v4
	v_and_or_b32 v6, 0x7f00, v3, 0.5
	v_cmp_gt_u32_e32 vcc_lo, 0x8000000, v4
	v_bfe_i32 v3, v3, 0, 16
	v_or_b32_e32 v5, 0x70000000, v5
	v_add_f32_e32 v6, -0.5, v6
	v_mul_f32_e32 v5, 0x7800000, v5
	v_cndmask_b32_e32 v4, v5, v6, vcc_lo
	v_and_or_b32 v3, 0x80000000, v3, v4
	v_cvt_f64_f32_e32 v[3:4], v3
.LBB9_487:
	s_mov_b32 s23, 0
	s_mov_b32 s22, -1
.LBB9_488:
	s_andn2_b32 vcc_lo, exec_lo, s23
	s_cbranch_vccnz .LBB9_499
; %bb.489:
	s_cmp_gt_i32 s0, 14
	s_cbranch_scc0 .LBB9_492
; %bb.490:
	s_cmp_eq_u32 s0, 15
	s_cbranch_scc0 .LBB9_493
; %bb.491:
	global_load_ushort v3, v[0:1], off
	s_mov_b32 s22, -1
	s_mov_b32 s1, 0
	s_waitcnt vmcnt(0)
	v_lshlrev_b32_e32 v3, 16, v3
	v_cvt_f64_f32_e32 v[3:4], v3
	s_branch .LBB9_494
.LBB9_492:
	s_mov_b32 s23, -1
                                        ; implicit-def: $vgpr3_vgpr4
	s_branch .LBB9_495
.LBB9_493:
	s_mov_b32 s1, -1
                                        ; implicit-def: $vgpr3_vgpr4
.LBB9_494:
	s_mov_b32 s23, 0
.LBB9_495:
	s_and_b32 vcc_lo, exec_lo, s23
	s_cbranch_vccz .LBB9_499
; %bb.496:
	s_cmp_eq_u32 s0, 11
	s_cbranch_scc0 .LBB9_498
; %bb.497:
	global_load_ubyte v3, v[0:1], off
	s_mov_b32 s1, 0
	s_mov_b32 s22, -1
	s_waitcnt vmcnt(0)
	v_cmp_ne_u16_e32 vcc_lo, 0, v3
	v_mov_b32_e32 v3, 0
	v_cndmask_b32_e64 v4, 0, 0x3ff00000, vcc_lo
	s_branch .LBB9_499
.LBB9_498:
	s_mov_b32 s1, -1
                                        ; implicit-def: $vgpr3_vgpr4
.LBB9_499:
	s_branch .LBB9_297
.LBB9_500:
	s_cmp_lt_i32 s0, 5
	s_cbranch_scc1 .LBB9_505
; %bb.501:
	s_cmp_lt_i32 s0, 8
	s_cbranch_scc1 .LBB9_506
; %bb.502:
	;; [unrolled: 3-line block ×3, first 2 shown]
	s_cmp_gt_i32 s0, 9
	s_cbranch_scc0 .LBB9_508
; %bb.504:
	global_load_dwordx2 v[3:4], v[0:1], off
	s_mov_b32 s22, 0
	s_branch .LBB9_509
.LBB9_505:
	s_mov_b32 s22, -1
                                        ; implicit-def: $vgpr3_vgpr4
	s_branch .LBB9_527
.LBB9_506:
	s_mov_b32 s22, -1
                                        ; implicit-def: $vgpr3_vgpr4
	s_branch .LBB9_515
.LBB9_507:
	s_mov_b32 s22, -1
                                        ; implicit-def: $vgpr3_vgpr4
	s_branch .LBB9_512
.LBB9_508:
	s_mov_b32 s22, -1
                                        ; implicit-def: $vgpr3_vgpr4
.LBB9_509:
	s_andn2_b32 vcc_lo, exec_lo, s22
	s_cbranch_vccnz .LBB9_511
; %bb.510:
	global_load_dword v3, v[0:1], off
	s_waitcnt vmcnt(0)
	v_cvt_f64_f32_e32 v[3:4], v3
.LBB9_511:
	s_mov_b32 s22, 0
.LBB9_512:
	s_andn2_b32 vcc_lo, exec_lo, s22
	s_cbranch_vccnz .LBB9_514
; %bb.513:
	global_load_dword v3, v[0:1], off
	s_waitcnt vmcnt(0)
	v_cvt_f32_f16_e32 v3, v3
	v_cvt_f64_f32_e32 v[3:4], v3
.LBB9_514:
	s_mov_b32 s22, 0
.LBB9_515:
	s_andn2_b32 vcc_lo, exec_lo, s22
	s_cbranch_vccnz .LBB9_526
; %bb.516:
	s_cmp_lt_i32 s0, 6
	s_cbranch_scc1 .LBB9_519
; %bb.517:
	s_cmp_gt_i32 s0, 6
	s_cbranch_scc0 .LBB9_520
; %bb.518:
	global_load_dwordx2 v[3:4], v[0:1], off
	s_mov_b32 s22, 0
	s_branch .LBB9_521
.LBB9_519:
	s_mov_b32 s22, -1
                                        ; implicit-def: $vgpr3_vgpr4
	s_branch .LBB9_524
.LBB9_520:
	s_mov_b32 s22, -1
                                        ; implicit-def: $vgpr3_vgpr4
.LBB9_521:
	s_andn2_b32 vcc_lo, exec_lo, s22
	s_cbranch_vccnz .LBB9_523
; %bb.522:
	global_load_dword v3, v[0:1], off
	s_waitcnt vmcnt(0)
	v_cvt_f64_f32_e32 v[3:4], v3
.LBB9_523:
	s_mov_b32 s22, 0
.LBB9_524:
	s_andn2_b32 vcc_lo, exec_lo, s22
	s_cbranch_vccnz .LBB9_526
; %bb.525:
	global_load_ushort v3, v[0:1], off
	s_waitcnt vmcnt(0)
	v_cvt_f32_f16_e32 v3, v3
	v_cvt_f64_f32_e32 v[3:4], v3
.LBB9_526:
	s_mov_b32 s22, 0
.LBB9_527:
	s_andn2_b32 vcc_lo, exec_lo, s22
	s_cbranch_vccnz .LBB9_547
; %bb.528:
	s_cmp_lt_i32 s0, 2
	s_cbranch_scc1 .LBB9_532
; %bb.529:
	s_cmp_lt_i32 s0, 3
	s_cbranch_scc1 .LBB9_533
; %bb.530:
	s_cmp_gt_i32 s0, 3
	s_cbranch_scc0 .LBB9_534
; %bb.531:
	global_load_dwordx2 v[3:4], v[0:1], off
	s_mov_b32 s22, 0
	s_waitcnt vmcnt(0)
	v_cvt_f64_i32_e32 v[4:5], v4
	v_cvt_f64_u32_e32 v[6:7], v3
	v_ldexp_f64 v[4:5], v[4:5], 32
	v_add_f64 v[3:4], v[4:5], v[6:7]
	s_branch .LBB9_535
.LBB9_532:
	s_mov_b32 s22, -1
                                        ; implicit-def: $vgpr3_vgpr4
	s_branch .LBB9_541
.LBB9_533:
	s_mov_b32 s22, -1
                                        ; implicit-def: $vgpr3_vgpr4
	s_branch .LBB9_538
.LBB9_534:
	s_mov_b32 s22, -1
                                        ; implicit-def: $vgpr3_vgpr4
.LBB9_535:
	s_andn2_b32 vcc_lo, exec_lo, s22
	s_cbranch_vccnz .LBB9_537
; %bb.536:
	global_load_dword v3, v[0:1], off
	s_waitcnt vmcnt(0)
	v_cvt_f64_i32_e32 v[3:4], v3
.LBB9_537:
	s_mov_b32 s22, 0
.LBB9_538:
	s_andn2_b32 vcc_lo, exec_lo, s22
	s_cbranch_vccnz .LBB9_540
; %bb.539:
	global_load_sshort v3, v[0:1], off
	s_waitcnt vmcnt(0)
	v_cvt_f64_i32_e32 v[3:4], v3
.LBB9_540:
	s_mov_b32 s22, 0
.LBB9_541:
	s_andn2_b32 vcc_lo, exec_lo, s22
	s_cbranch_vccnz .LBB9_547
; %bb.542:
	s_cmp_gt_i32 s0, 0
	s_mov_b32 s0, 0
	s_cbranch_scc0 .LBB9_544
; %bb.543:
	global_load_sbyte v3, v[0:1], off
	s_waitcnt vmcnt(0)
	v_cvt_f64_i32_e32 v[3:4], v3
	s_branch .LBB9_545
.LBB9_544:
	s_mov_b32 s0, -1
                                        ; implicit-def: $vgpr3_vgpr4
.LBB9_545:
	s_andn2_b32 vcc_lo, exec_lo, s0
	s_cbranch_vccnz .LBB9_547
; %bb.546:
	global_load_ubyte v0, v[0:1], off
	s_waitcnt vmcnt(0)
	v_cvt_f64_u32_e32 v[3:4], v0
.LBB9_547:
	s_branch .LBB9_298
.LBB9_548:
	s_mov_b32 s22, 0
	s_mov_b32 s0, s36
.LBB9_549:
                                        ; implicit-def: $vgpr8
.LBB9_550:
	s_andn2_b32 s23, s36, exec_lo
	s_and_b32 s0, s0, exec_lo
	s_andn2_b32 s39, s37, exec_lo
	s_and_b32 s1, s1, exec_lo
	s_or_b32 s40, s23, s0
	s_or_b32 s39, s39, s1
	s_orn2_b32 s0, s22, exec_lo
.LBB9_551:
	s_or_b32 exec_lo, exec_lo, s41
	s_mov_b32 s1, 0
	s_mov_b32 s23, 0
	;; [unrolled: 1-line block ×3, first 2 shown]
                                        ; implicit-def: $vgpr0_vgpr1
                                        ; implicit-def: $vgpr2
                                        ; implicit-def: $vgpr3_vgpr4
	s_and_saveexec_b32 s41, s0
	s_cbranch_execz .LBB9_932
; %bb.552:
	s_mov_b32 s44, -1
	s_mov_b32 s22, s39
	s_mov_b32 s23, s40
	s_mov_b32 s42, exec_lo
	v_cmpx_gt_i32_e64 s33, v8
	s_cbranch_execz .LBB9_831
; %bb.553:
	s_andn2_b32 vcc_lo, exec_lo, s27
	s_cbranch_vccnz .LBB9_558
; %bb.554:
	s_andn2_b32 vcc_lo, exec_lo, s34
	s_cbranch_vccnz .LBB9_559
; %bb.555:
	s_add_i32 s44, s35, 1
	s_cmp_eq_u32 s25, 2
	s_cbranch_scc1 .LBB9_560
; %bb.556:
	v_mov_b32_e32 v0, 0
	v_mov_b32_e32 v2, 0
	;; [unrolled: 1-line block ×3, first 2 shown]
	s_and_b32 s43, s44, 28
	s_mov_b32 s45, 0
	s_mov_b64 s[0:1], s[2:3]
	s_mov_b64 s[22:23], s[20:21]
.LBB9_557:                              ; =>This Inner Loop Header: Depth=1
	s_clause 0x1
	s_load_dwordx8 s[48:55], s[0:1], 0x4
	s_load_dwordx4 s[64:67], s[0:1], 0x24
	s_load_dwordx8 s[56:63], s[22:23], 0x0
	s_add_u32 s0, s0, 48
	s_addc_u32 s1, s1, 0
	s_add_i32 s45, s45, 4
	s_add_u32 s22, s22, 32
	s_addc_u32 s23, s23, 0
	s_cmp_eq_u32 s43, s45
	s_waitcnt vmcnt(0) lgkmcnt(0)
	v_mul_hi_u32 v3, s49, v1
	v_add_nc_u32_e32 v3, v1, v3
	v_lshrrev_b32_e32 v3, s50, v3
	v_mul_hi_u32 v4, s52, v3
	v_mul_lo_u32 v6, v3, s48
	v_add_nc_u32_e32 v4, v3, v4
	v_sub_nc_u32_e32 v1, v1, v6
	v_lshrrev_b32_e32 v4, s53, v4
	v_mul_lo_u32 v6, v1, s56
	v_mul_lo_u32 v9, v1, s57
	v_mul_hi_u32 v5, s55, v4
	v_add_nc_u32_e32 v5, v4, v5
	v_lshrrev_b32_e32 v5, s64, v5
	v_mul_hi_u32 v7, s66, v5
	v_mul_lo_u32 v10, v5, s54
	v_add_nc_u32_e32 v1, v5, v7
	v_mul_lo_u32 v7, v4, s51
	v_sub_nc_u32_e32 v4, v4, v10
	v_lshrrev_b32_e32 v1, s67, v1
	v_mul_lo_u32 v10, v4, s60
	v_mul_lo_u32 v4, v4, s61
	v_sub_nc_u32_e32 v3, v3, v7
	v_mul_lo_u32 v11, v1, s65
	v_mul_lo_u32 v7, v3, s58
	;; [unrolled: 1-line block ×3, first 2 shown]
	v_sub_nc_u32_e32 v5, v5, v11
	v_add3_u32 v2, v6, v2, v7
	v_mul_lo_u32 v11, v5, s62
	v_mul_lo_u32 v5, v5, s63
	v_add3_u32 v0, v9, v0, v3
	v_add3_u32 v2, v10, v2, v11
	;; [unrolled: 1-line block ×3, first 2 shown]
	s_cbranch_scc0 .LBB9_557
	s_branch .LBB9_561
.LBB9_558:
	s_mov_b32 s0, -1
                                        ; implicit-def: $vgpr2
                                        ; implicit-def: $vgpr0
	s_branch .LBB9_565
.LBB9_559:
	v_mov_b32_e32 v2, 0
	v_mov_b32_e32 v0, 0
	s_branch .LBB9_564
.LBB9_560:
	v_mov_b32_e32 v2, 0
	v_mov_b32_e32 v0, 0
	;; [unrolled: 1-line block ×3, first 2 shown]
	s_mov_b32 s43, 0
.LBB9_561:
	s_and_b32 s44, s44, 3
	s_cmp_eq_u32 s44, 0
	s_cbranch_scc1 .LBB9_564
; %bb.562:
	s_lshl_b32 s0, s43, 3
	s_mul_i32 s22, s43, 12
	s_add_u32 s0, s2, s0
	s_addc_u32 s1, s3, 0
	s_add_u32 s0, s0, 0xc4
	s_addc_u32 s1, s1, 0
	;; [unrolled: 2-line block ×3, first 2 shown]
	.p2align	6
.LBB9_563:                              ; =>This Inner Loop Header: Depth=1
	s_clause 0x1
	s_load_dwordx2 s[46:47], s[22:23], 0x4
	s_load_dword s43, s[22:23], 0xc
	s_load_dwordx2 s[48:49], s[0:1], 0x0
	s_add_u32 s22, s22, 12
	s_addc_u32 s23, s23, 0
	s_add_u32 s0, s0, 8
	s_addc_u32 s1, s1, 0
	s_add_i32 s44, s44, -1
	s_cmp_lg_u32 s44, 0
	s_waitcnt vmcnt(0) lgkmcnt(0)
	v_mul_hi_u32 v3, s47, v1
	v_add_nc_u32_e32 v3, v1, v3
	v_lshrrev_b32_e32 v4, s43, v3
	v_mul_lo_u32 v3, v4, s46
	v_sub_nc_u32_e32 v1, v1, v3
	v_mad_u64_u32 v[2:3], null, v1, s48, v[2:3]
	v_mad_u64_u32 v[0:1], null, v1, s49, v[0:1]
	v_mov_b32_e32 v1, v4
	s_cbranch_scc1 .LBB9_563
.LBB9_564:
	s_mov_b32 s0, 0
.LBB9_565:
	s_andn2_b32 vcc_lo, exec_lo, s0
	s_cbranch_vccnz .LBB9_568
; %bb.566:
	s_waitcnt lgkmcnt(0)
	v_mul_hi_u32 v0, s17, v8
	s_andn2_b32 vcc_lo, exec_lo, s31
	v_add_nc_u32_e32 v0, v8, v0
	v_lshrrev_b32_e32 v1, s18, v0
	v_mul_lo_u32 v0, v1, s16
	v_sub_nc_u32_e32 v0, v8, v0
	v_mul_lo_u32 v2, v0, s12
	v_mul_lo_u32 v0, v0, s13
	s_cbranch_vccnz .LBB9_568
; %bb.567:
	s_waitcnt vmcnt(0)
	v_mul_hi_u32 v3, s6, v1
	v_add_nc_u32_e32 v3, v1, v3
	v_lshrrev_b32_e32 v3, s7, v3
	v_mul_lo_u32 v3, v3, s19
	v_sub_nc_u32_e32 v1, v1, v3
	v_mad_u64_u32 v[2:3], null, v1, s14, v[2:3]
	v_mad_u64_u32 v[0:1], null, v1, s15, v[0:1]
.LBB9_568:
	s_waitcnt lgkmcnt(0)
	v_add_co_u32 v0, s0, s10, v0
	v_add_co_ci_u32_e64 v1, null, s11, 0, s0
	s_and_b32 s0, 0xffff, s30
	s_cmp_lt_i32 s0, 11
	s_cbranch_scc1 .LBB9_575
; %bb.569:
	s_cmp_gt_i32 s0, 25
	s_cbranch_scc0 .LBB9_576
; %bb.570:
	s_cmp_gt_i32 s0, 28
	s_cbranch_scc0 .LBB9_577
	;; [unrolled: 3-line block ×4, first 2 shown]
; %bb.573:
	s_cmp_eq_u32 s0, 46
	s_mov_b32 s23, 0
	s_cbranch_scc0 .LBB9_584
; %bb.574:
	global_load_dword v3, v[0:1], off
	s_mov_b32 s22, -1
	s_mov_b32 s1, 0
	s_waitcnt vmcnt(0)
	v_lshlrev_b32_e32 v3, 16, v3
	v_cvt_f64_f32_e32 v[3:4], v3
	s_branch .LBB9_586
.LBB9_575:
	s_mov_b32 s23, -1
	s_mov_b32 s22, 0
	s_mov_b32 s1, s39
                                        ; implicit-def: $vgpr3_vgpr4
	s_branch .LBB9_651
.LBB9_576:
	s_mov_b32 s23, -1
	s_mov_b32 s22, 0
	s_mov_b32 s1, s39
                                        ; implicit-def: $vgpr3_vgpr4
	s_branch .LBB9_617
.LBB9_577:
	s_mov_b32 s23, -1
	s_mov_b32 s22, 0
	s_mov_b32 s1, s39
                                        ; implicit-def: $vgpr3_vgpr4
	s_branch .LBB9_596
.LBB9_578:
	s_mov_b32 s23, -1
	s_mov_b32 s22, 0
	s_mov_b32 s1, s39
                                        ; implicit-def: $vgpr3_vgpr4
	s_branch .LBB9_591
.LBB9_579:
	s_andn2_saveexec_b32 s42, s42
	s_cbranch_execz .LBB9_348
.LBB9_580:
	v_add_f32_e64 v3, 0x46000000, |v2|
	s_andn2_b32 s40, s40, exec_lo
	v_and_b32_e32 v3, 0xff, v3
	v_cmp_ne_u32_e32 vcc_lo, 0, v3
	s_and_b32 s43, vcc_lo, exec_lo
	s_or_b32 s40, s40, s43
	s_or_b32 exec_lo, exec_lo, s42
	v_mov_b32_e32 v6, 0
	s_and_saveexec_b32 s42, s40
	s_cbranch_execnz .LBB9_349
	s_branch .LBB9_350
.LBB9_581:
	s_mov_b32 s23, -1
	s_mov_b32 s22, 0
	s_mov_b32 s1, s39
	s_branch .LBB9_585
.LBB9_582:
	s_andn2_saveexec_b32 s42, s42
	s_cbranch_execz .LBB9_361
.LBB9_583:
	v_add_f32_e64 v3, 0x42800000, |v2|
	s_andn2_b32 s40, s40, exec_lo
	v_and_b32_e32 v3, 0xff, v3
	v_cmp_ne_u32_e32 vcc_lo, 0, v3
	s_and_b32 s43, vcc_lo, exec_lo
	s_or_b32 s40, s40, s43
	s_or_b32 exec_lo, exec_lo, s42
	v_mov_b32_e32 v6, 0
	s_and_saveexec_b32 s42, s40
	s_cbranch_execnz .LBB9_362
	s_branch .LBB9_363
.LBB9_584:
	s_mov_b32 s1, -1
	s_mov_b32 s22, 0
.LBB9_585:
                                        ; implicit-def: $vgpr3_vgpr4
.LBB9_586:
	s_and_b32 vcc_lo, exec_lo, s23
	s_cbranch_vccz .LBB9_590
; %bb.587:
	s_cmp_eq_u32 s0, 44
	s_cbranch_scc0 .LBB9_589
; %bb.588:
	global_load_ubyte v5, v[0:1], off
	s_mov_b32 s1, 0
	s_mov_b32 s22, -1
	s_waitcnt vmcnt(0)
	v_lshlrev_b32_e32 v3, 23, v5
	v_cmp_ne_u32_e32 vcc_lo, 0xff, v5
	v_cvt_f64_f32_e32 v[3:4], v3
	v_cndmask_b32_e32 v3, 0x20000000, v3, vcc_lo
	v_cndmask_b32_e32 v4, 0x7ff80000, v4, vcc_lo
	v_cmp_ne_u32_e32 vcc_lo, 0, v5
	v_cndmask_b32_e32 v4, 0x38000000, v4, vcc_lo
	v_cndmask_b32_e32 v3, 0, v3, vcc_lo
	s_branch .LBB9_590
.LBB9_589:
	s_mov_b32 s1, -1
                                        ; implicit-def: $vgpr3_vgpr4
.LBB9_590:
	s_mov_b32 s23, 0
.LBB9_591:
	s_and_b32 vcc_lo, exec_lo, s23
	s_cbranch_vccz .LBB9_595
; %bb.592:
	s_cmp_eq_u32 s0, 29
	s_cbranch_scc0 .LBB9_594
; %bb.593:
	global_load_dwordx2 v[3:4], v[0:1], off
	s_mov_b32 s22, -1
	s_mov_b32 s1, 0
	s_mov_b32 s23, 0
	s_waitcnt vmcnt(0)
	v_cvt_f64_u32_e32 v[4:5], v4
	v_cvt_f64_u32_e32 v[6:7], v3
	v_ldexp_f64 v[4:5], v[4:5], 32
	v_add_f64 v[3:4], v[4:5], v[6:7]
	s_branch .LBB9_596
.LBB9_594:
	s_mov_b32 s1, -1
                                        ; implicit-def: $vgpr3_vgpr4
.LBB9_595:
	s_mov_b32 s23, 0
.LBB9_596:
	s_and_b32 vcc_lo, exec_lo, s23
	s_cbranch_vccz .LBB9_616
; %bb.597:
	s_cmp_lt_i32 s0, 27
	s_cbranch_scc1 .LBB9_600
; %bb.598:
	s_cmp_gt_i32 s0, 27
	s_cbranch_scc0 .LBB9_601
; %bb.599:
	global_load_dword v3, v[0:1], off
	s_mov_b32 s22, 0
	s_waitcnt vmcnt(0)
	v_cvt_f64_u32_e32 v[3:4], v3
	s_branch .LBB9_602
.LBB9_600:
	s_mov_b32 s22, -1
                                        ; implicit-def: $vgpr3_vgpr4
	s_branch .LBB9_605
.LBB9_601:
	s_mov_b32 s22, -1
                                        ; implicit-def: $vgpr3_vgpr4
.LBB9_602:
	s_andn2_b32 vcc_lo, exec_lo, s22
	s_cbranch_vccnz .LBB9_604
; %bb.603:
	global_load_ushort v3, v[0:1], off
	s_waitcnt vmcnt(0)
	v_cvt_f64_u32_e32 v[3:4], v3
.LBB9_604:
	s_mov_b32 s22, 0
.LBB9_605:
	s_andn2_b32 vcc_lo, exec_lo, s22
	s_cbranch_vccnz .LBB9_615
; %bb.606:
	global_load_ubyte v5, v[0:1], off
	s_mov_b32 s22, 0
	s_mov_b32 s23, exec_lo
	s_waitcnt vmcnt(0)
	v_cmpx_lt_i16_e32 0x7f, v5
	s_xor_b32 s23, exec_lo, s23
	s_cbranch_execz .LBB9_610
; %bb.607:
	s_mov_b32 s22, -1
	s_mov_b32 s43, exec_lo
	v_cmpx_eq_u16_e32 0x80, v5
; %bb.608:
	s_xor_b32 s22, exec_lo, -1
; %bb.609:
	s_or_b32 exec_lo, exec_lo, s43
	s_and_b32 s22, s22, exec_lo
.LBB9_610:
	s_or_saveexec_b32 s23, s23
	v_bfrev_b32_e32 v3, 4
	v_mov_b32_e32 v4, 0x7ff80000
	s_xor_b32 exec_lo, exec_lo, s23
; %bb.611:
	v_cmp_ne_u16_e32 vcc_lo, 0, v5
	v_mov_b32_e32 v3, 0
	v_mov_b32_e32 v4, 0
	s_andn2_b32 s22, s22, exec_lo
	s_and_b32 s43, vcc_lo, exec_lo
	s_or_b32 s22, s22, s43
; %bb.612:
	s_or_b32 exec_lo, exec_lo, s23
	s_and_saveexec_b32 s23, s22
	s_cbranch_execz .LBB9_614
; %bb.613:
	v_and_b32_e32 v3, 0xffff, v5
	v_lshlrev_b32_e32 v5, 24, v5
	v_and_b32_e32 v4, 7, v3
	v_bfe_u32 v9, v3, 3, 4
	v_ffbh_u32_e32 v6, v4
	v_cmp_eq_u32_e32 vcc_lo, 0, v9
	v_min_u32_e32 v6, 32, v6
	v_subrev_nc_u32_e32 v7, 28, v6
	v_sub_nc_u32_e32 v6, 29, v6
	v_lshlrev_b32_e32 v3, v7, v3
	v_cndmask_b32_e32 v6, v9, v6, vcc_lo
	v_and_b32_e32 v3, 7, v3
	v_cndmask_b32_e32 v3, v4, v3, vcc_lo
	v_and_b32_e32 v4, 0x80000000, v5
	v_lshl_add_u32 v5, v6, 23, 0x3b800000
	v_lshlrev_b32_e32 v3, 20, v3
	v_or3_b32 v3, v4, v5, v3
	v_cvt_f64_f32_e32 v[3:4], v3
.LBB9_614:
	s_or_b32 exec_lo, exec_lo, s23
.LBB9_615:
	s_mov_b32 s22, -1
.LBB9_616:
	s_mov_b32 s23, 0
.LBB9_617:
	s_and_b32 vcc_lo, exec_lo, s23
	s_cbranch_vccz .LBB9_650
; %bb.618:
	s_cmp_gt_i32 s0, 22
	s_cbranch_scc0 .LBB9_630
; %bb.619:
	s_cmp_lt_i32 s0, 24
	s_cbranch_scc1 .LBB9_631
; %bb.620:
	s_cmp_gt_i32 s0, 24
	s_cbranch_scc0 .LBB9_632
; %bb.621:
	global_load_ubyte v5, v[0:1], off
	s_mov_b32 s22, 0
	s_mov_b32 s23, exec_lo
	s_waitcnt vmcnt(0)
	v_cmpx_lt_i16_e32 0x7f, v5
	s_xor_b32 s23, exec_lo, s23
	s_cbranch_execz .LBB9_625
; %bb.622:
	s_mov_b32 s22, -1
	s_mov_b32 s43, exec_lo
	v_cmpx_eq_u16_e32 0x80, v5
; %bb.623:
	s_xor_b32 s22, exec_lo, -1
; %bb.624:
	s_or_b32 exec_lo, exec_lo, s43
	s_and_b32 s22, s22, exec_lo
.LBB9_625:
	s_or_saveexec_b32 s23, s23
	v_bfrev_b32_e32 v3, 4
	v_mov_b32_e32 v4, 0x7ff80000
	s_xor_b32 exec_lo, exec_lo, s23
; %bb.626:
	v_cmp_ne_u16_e32 vcc_lo, 0, v5
	v_mov_b32_e32 v3, 0
	v_mov_b32_e32 v4, 0
	s_andn2_b32 s22, s22, exec_lo
	s_and_b32 s43, vcc_lo, exec_lo
	s_or_b32 s22, s22, s43
; %bb.627:
	s_or_b32 exec_lo, exec_lo, s23
	s_and_saveexec_b32 s23, s22
	s_cbranch_execz .LBB9_629
; %bb.628:
	v_and_b32_e32 v3, 0xffff, v5
	v_lshlrev_b32_e32 v5, 24, v5
	v_and_b32_e32 v4, 3, v3
	v_bfe_u32 v9, v3, 2, 5
	v_ffbh_u32_e32 v6, v4
	v_cmp_eq_u32_e32 vcc_lo, 0, v9
	v_min_u32_e32 v6, 32, v6
	v_subrev_nc_u32_e32 v7, 29, v6
	v_sub_nc_u32_e32 v6, 30, v6
	v_lshlrev_b32_e32 v3, v7, v3
	v_cndmask_b32_e32 v6, v9, v6, vcc_lo
	v_and_b32_e32 v3, 3, v3
	v_cndmask_b32_e32 v3, v4, v3, vcc_lo
	v_and_b32_e32 v4, 0x80000000, v5
	v_lshl_add_u32 v5, v6, 23, 0x37800000
	v_lshlrev_b32_e32 v3, 21, v3
	v_or3_b32 v3, v4, v5, v3
	v_cvt_f64_f32_e32 v[3:4], v3
.LBB9_629:
	s_or_b32 exec_lo, exec_lo, s23
	s_mov_b32 s22, 0
	s_branch .LBB9_633
.LBB9_630:
	s_mov_b32 s23, -1
                                        ; implicit-def: $vgpr3_vgpr4
	s_branch .LBB9_639
.LBB9_631:
	s_mov_b32 s22, -1
                                        ; implicit-def: $vgpr3_vgpr4
	s_branch .LBB9_636
.LBB9_632:
	s_mov_b32 s22, -1
                                        ; implicit-def: $vgpr3_vgpr4
.LBB9_633:
	s_and_b32 vcc_lo, exec_lo, s22
	s_cbranch_vccz .LBB9_635
; %bb.634:
	global_load_ubyte v3, v[0:1], off
	s_waitcnt vmcnt(0)
	v_lshlrev_b32_e32 v3, 24, v3
	v_and_b32_e32 v4, 0x7f000000, v3
	v_ffbh_u32_e32 v5, v4
	v_add_nc_u32_e32 v7, 0x1000000, v4
	v_cmp_ne_u32_e32 vcc_lo, 0, v4
	v_min_u32_e32 v5, 32, v5
	v_sub_nc_u32_e64 v5, v5, 4 clamp
	v_lshlrev_b32_e32 v6, v5, v4
	v_lshlrev_b32_e32 v5, 23, v5
	v_lshrrev_b32_e32 v6, 4, v6
	v_sub_nc_u32_e32 v5, v6, v5
	v_ashrrev_i32_e32 v6, 8, v7
	v_add_nc_u32_e32 v5, 0x3c000000, v5
	v_and_or_b32 v5, 0x7f800000, v6, v5
	v_cndmask_b32_e32 v4, 0, v5, vcc_lo
	v_and_or_b32 v3, 0x80000000, v3, v4
	v_cvt_f64_f32_e32 v[3:4], v3
.LBB9_635:
	s_mov_b32 s22, 0
.LBB9_636:
	s_andn2_b32 vcc_lo, exec_lo, s22
	s_cbranch_vccnz .LBB9_638
; %bb.637:
	global_load_ubyte v3, v[0:1], off
	s_waitcnt vmcnt(0)
	v_lshlrev_b32_e32 v4, 25, v3
	v_lshlrev_b16 v3, 8, v3
	v_lshrrev_b32_e32 v5, 4, v4
	v_and_or_b32 v6, 0x7f00, v3, 0.5
	v_cmp_gt_u32_e32 vcc_lo, 0x8000000, v4
	v_bfe_i32 v3, v3, 0, 16
	v_or_b32_e32 v5, 0x70000000, v5
	v_add_f32_e32 v6, -0.5, v6
	v_mul_f32_e32 v5, 0x7800000, v5
	v_cndmask_b32_e32 v4, v5, v6, vcc_lo
	v_and_or_b32 v3, 0x80000000, v3, v4
	v_cvt_f64_f32_e32 v[3:4], v3
.LBB9_638:
	s_mov_b32 s23, 0
	s_mov_b32 s22, -1
.LBB9_639:
	s_andn2_b32 vcc_lo, exec_lo, s23
	s_cbranch_vccnz .LBB9_650
; %bb.640:
	s_cmp_gt_i32 s0, 14
	s_cbranch_scc0 .LBB9_643
; %bb.641:
	s_cmp_eq_u32 s0, 15
	s_cbranch_scc0 .LBB9_644
; %bb.642:
	global_load_ushort v3, v[0:1], off
	s_mov_b32 s22, -1
	s_mov_b32 s1, 0
	s_waitcnt vmcnt(0)
	v_lshlrev_b32_e32 v3, 16, v3
	v_cvt_f64_f32_e32 v[3:4], v3
	s_branch .LBB9_645
.LBB9_643:
	s_mov_b32 s23, -1
                                        ; implicit-def: $vgpr3_vgpr4
	s_branch .LBB9_646
.LBB9_644:
	s_mov_b32 s1, -1
                                        ; implicit-def: $vgpr3_vgpr4
.LBB9_645:
	s_mov_b32 s23, 0
.LBB9_646:
	s_and_b32 vcc_lo, exec_lo, s23
	s_cbranch_vccz .LBB9_650
; %bb.647:
	s_cmp_eq_u32 s0, 11
	s_cbranch_scc0 .LBB9_649
; %bb.648:
	global_load_ubyte v3, v[0:1], off
	s_mov_b32 s1, 0
	s_mov_b32 s22, -1
	s_waitcnt vmcnt(0)
	v_cmp_ne_u16_e32 vcc_lo, 0, v3
	v_mov_b32_e32 v3, 0
	v_cndmask_b32_e64 v4, 0, 0x3ff00000, vcc_lo
	s_branch .LBB9_650
.LBB9_649:
	s_mov_b32 s1, -1
                                        ; implicit-def: $vgpr3_vgpr4
.LBB9_650:
	s_mov_b32 s23, 0
.LBB9_651:
	s_and_b32 vcc_lo, exec_lo, s23
	s_cbranch_vccz .LBB9_700
; %bb.652:
	s_cmp_lt_i32 s0, 5
	s_cbranch_scc1 .LBB9_657
; %bb.653:
	s_cmp_lt_i32 s0, 8
	s_cbranch_scc1 .LBB9_658
	;; [unrolled: 3-line block ×3, first 2 shown]
; %bb.655:
	s_cmp_gt_i32 s0, 9
	s_cbranch_scc0 .LBB9_660
; %bb.656:
	global_load_dwordx2 v[3:4], v[0:1], off
	s_mov_b32 s22, 0
	s_branch .LBB9_661
.LBB9_657:
	s_mov_b32 s22, -1
                                        ; implicit-def: $vgpr3_vgpr4
	s_branch .LBB9_679
.LBB9_658:
	s_mov_b32 s22, -1
                                        ; implicit-def: $vgpr3_vgpr4
	s_branch .LBB9_667
.LBB9_659:
	s_mov_b32 s22, -1
                                        ; implicit-def: $vgpr3_vgpr4
	s_branch .LBB9_664
.LBB9_660:
	s_mov_b32 s22, -1
                                        ; implicit-def: $vgpr3_vgpr4
.LBB9_661:
	s_andn2_b32 vcc_lo, exec_lo, s22
	s_cbranch_vccnz .LBB9_663
; %bb.662:
	global_load_dword v3, v[0:1], off
	s_waitcnt vmcnt(0)
	v_cvt_f64_f32_e32 v[3:4], v3
.LBB9_663:
	s_mov_b32 s22, 0
.LBB9_664:
	s_andn2_b32 vcc_lo, exec_lo, s22
	s_cbranch_vccnz .LBB9_666
; %bb.665:
	global_load_dword v3, v[0:1], off
	s_waitcnt vmcnt(0)
	v_cvt_f32_f16_e32 v3, v3
	v_cvt_f64_f32_e32 v[3:4], v3
.LBB9_666:
	s_mov_b32 s22, 0
.LBB9_667:
	s_andn2_b32 vcc_lo, exec_lo, s22
	s_cbranch_vccnz .LBB9_678
; %bb.668:
	s_cmp_lt_i32 s0, 6
	s_cbranch_scc1 .LBB9_671
; %bb.669:
	s_cmp_gt_i32 s0, 6
	s_cbranch_scc0 .LBB9_672
; %bb.670:
	global_load_dwordx2 v[3:4], v[0:1], off
	s_mov_b32 s22, 0
	s_branch .LBB9_673
.LBB9_671:
	s_mov_b32 s22, -1
                                        ; implicit-def: $vgpr3_vgpr4
	s_branch .LBB9_676
.LBB9_672:
	s_mov_b32 s22, -1
                                        ; implicit-def: $vgpr3_vgpr4
.LBB9_673:
	s_andn2_b32 vcc_lo, exec_lo, s22
	s_cbranch_vccnz .LBB9_675
; %bb.674:
	global_load_dword v3, v[0:1], off
	s_waitcnt vmcnt(0)
	v_cvt_f64_f32_e32 v[3:4], v3
.LBB9_675:
	s_mov_b32 s22, 0
.LBB9_676:
	s_andn2_b32 vcc_lo, exec_lo, s22
	s_cbranch_vccnz .LBB9_678
; %bb.677:
	global_load_ushort v3, v[0:1], off
	s_waitcnt vmcnt(0)
	v_cvt_f32_f16_e32 v3, v3
	v_cvt_f64_f32_e32 v[3:4], v3
.LBB9_678:
	s_mov_b32 s22, 0
.LBB9_679:
	s_andn2_b32 vcc_lo, exec_lo, s22
	s_cbranch_vccnz .LBB9_699
; %bb.680:
	s_cmp_lt_i32 s0, 2
	s_cbranch_scc1 .LBB9_684
; %bb.681:
	s_cmp_lt_i32 s0, 3
	s_cbranch_scc1 .LBB9_685
; %bb.682:
	s_cmp_gt_i32 s0, 3
	s_cbranch_scc0 .LBB9_686
; %bb.683:
	global_load_dwordx2 v[3:4], v[0:1], off
	s_mov_b32 s22, 0
	s_waitcnt vmcnt(0)
	v_cvt_f64_i32_e32 v[4:5], v4
	v_cvt_f64_u32_e32 v[6:7], v3
	v_ldexp_f64 v[4:5], v[4:5], 32
	v_add_f64 v[3:4], v[4:5], v[6:7]
	s_branch .LBB9_687
.LBB9_684:
	s_mov_b32 s22, -1
                                        ; implicit-def: $vgpr3_vgpr4
	s_branch .LBB9_693
.LBB9_685:
	s_mov_b32 s22, -1
                                        ; implicit-def: $vgpr3_vgpr4
	s_branch .LBB9_690
.LBB9_686:
	s_mov_b32 s22, -1
                                        ; implicit-def: $vgpr3_vgpr4
.LBB9_687:
	s_andn2_b32 vcc_lo, exec_lo, s22
	s_cbranch_vccnz .LBB9_689
; %bb.688:
	global_load_dword v3, v[0:1], off
	s_waitcnt vmcnt(0)
	v_cvt_f64_i32_e32 v[3:4], v3
.LBB9_689:
	s_mov_b32 s22, 0
.LBB9_690:
	s_andn2_b32 vcc_lo, exec_lo, s22
	s_cbranch_vccnz .LBB9_692
; %bb.691:
	global_load_sshort v3, v[0:1], off
	s_waitcnt vmcnt(0)
	v_cvt_f64_i32_e32 v[3:4], v3
.LBB9_692:
	s_mov_b32 s22, 0
.LBB9_693:
	s_andn2_b32 vcc_lo, exec_lo, s22
	s_cbranch_vccnz .LBB9_699
; %bb.694:
	s_cmp_gt_i32 s0, 0
	s_mov_b32 s0, 0
	s_cbranch_scc0 .LBB9_696
; %bb.695:
	global_load_sbyte v3, v[0:1], off
	s_waitcnt vmcnt(0)
	v_cvt_f64_i32_e32 v[3:4], v3
	s_branch .LBB9_697
.LBB9_696:
	s_mov_b32 s0, -1
                                        ; implicit-def: $vgpr3_vgpr4
.LBB9_697:
	s_andn2_b32 vcc_lo, exec_lo, s0
	s_cbranch_vccnz .LBB9_699
; %bb.698:
	global_load_ubyte v0, v[0:1], off
	s_waitcnt vmcnt(0)
	v_cvt_f64_u32_e32 v[3:4], v0
.LBB9_699:
	s_mov_b32 s22, -1
.LBB9_700:
	s_andn2_b32 vcc_lo, exec_lo, s22
	s_cbranch_vccnz .LBB9_712
; %bb.701:
	s_waitcnt vmcnt(0)
	v_cmp_ge_f64_e64 s0, 0x40200000, |v[3:4]|
                                        ; implicit-def: $vgpr0_vgpr1
	s_and_saveexec_b32 s22, s0
	s_xor_b32 s0, exec_lo, s22
	s_cbranch_execz .LBB9_703
; %bb.702:
	v_fma_f64 v[0:1], |v[3:4]|, 0.5, -2.0
	s_mov_b32 s22, 0x977da589
	s_mov_b32 s23, 0x3c833362
	;; [unrolled: 1-line block ×4, first 2 shown]
	v_fma_f64 v[5:6], v[0:1], s[44:45], s[22:23]
	s_mov_b32 s45, 0x3c545cb7
	s_mov_b32 s22, 0x721ebbb4
	;; [unrolled: 1-line block ×3, first 2 shown]
	v_fma_f64 v[9:10], v[0:1], v[5:6], s[44:45]
	s_mov_b32 s44, 0x3b39803f
	s_mov_b32 s45, 0xbc7abc9e
	v_add_f64 v[9:10], v[9:10], s[22:23]
	s_mov_b32 s22, 0x93f65eba
	s_mov_b32 s23, 0x3cdee6d8
	v_fma_f64 v[5:6], v[0:1], v[9:10], -v[5:6]
	v_add_f64 v[5:6], v[5:6], s[22:23]
	s_mov_b32 s22, 0xc297fbeb
	s_mov_b32 s23, 0xbd0a5022
	v_fma_f64 v[9:10], v[0:1], v[5:6], -v[9:10]
	;; [unrolled: 4-line block ×20, first 2 shown]
	v_add_f64 v[9:10], v[9:10], s[22:23]
	s_mov_b32 s22, 0x652b82fe
	s_mov_b32 s23, 0x3ff71547
	v_mul_f64 v[11:12], |v[3:4]|, s[22:23]
	s_mov_b32 s22, 0xf3dde3dd
	s_mov_b32 s23, 0x3f859961
	v_fma_f64 v[5:6], v[0:1], v[9:10], -v[5:6]
	v_rndne_f64_e32 v[11:12], v[11:12]
	v_add_f64 v[5:6], v[5:6], s[22:23]
	s_mov_b32 s22, 0xfefa39ef
	s_mov_b32 s23, 0xbfe62e42
	v_fma_f64 v[3:4], v[11:12], s[22:23], |v[3:4]|
	s_mov_b32 s22, 0xf121b6f0
	s_mov_b32 s23, 0xbf984e9e
	v_cvt_i32_f64_e32 v7, v[11:12]
	v_fma_f64 v[9:10], v[0:1], v[5:6], -v[9:10]
	v_fma_f64 v[3:4], v[11:12], s[44:45], v[3:4]
	s_mov_b32 s44, 0x6a5dcb37
	s_mov_b32 s45, 0x3e5ade15
	v_add_f64 v[9:10], v[9:10], s[22:23]
	s_mov_b32 s22, 0xfca7ab0c
	s_mov_b32 s23, 0x3e928af3
	v_fma_f64 v[13:14], v[3:4], s[44:45], s[22:23]
	s_mov_b32 s22, 0xcea8a32d
	s_mov_b32 s44, 0x623fde64
	;; [unrolled: 1-line block ×4, first 2 shown]
	v_fma_f64 v[5:6], v[0:1], v[9:10], -v[5:6]
	v_fma_f64 v[13:14], v[3:4], v[13:14], s[44:45]
	s_mov_b32 s44, 0x14761f6e
	s_mov_b32 s45, 0x3f2a01a0
	v_add_f64 v[5:6], v[5:6], s[22:23]
	s_mov_b32 s22, 0x7c89e6b0
	s_mov_b32 s23, 0x3efa0199
	v_fma_f64 v[13:14], v[3:4], v[13:14], s[22:23]
	s_mov_b32 s22, 0x342d06ea
	s_mov_b32 s23, 0xbfb84b70
	v_fma_f64 v[9:10], v[0:1], v[5:6], -v[9:10]
	v_fma_f64 v[13:14], v[3:4], v[13:14], s[44:45]
	s_mov_b32 s44, 0x11122322
	s_mov_b32 s45, 0x3f811111
	v_add_f64 v[9:10], v[9:10], s[22:23]
	s_mov_b32 s22, 0x1852b7b0
	s_mov_b32 s23, 0x3f56c16c
	v_fma_f64 v[13:14], v[3:4], v[13:14], s[22:23]
	s_mov_b32 s22, 0x77ac88c0
	s_mov_b32 s23, 0x3fc5f7ac
	v_fma_f64 v[5:6], v[0:1], v[9:10], -v[5:6]
	v_fma_f64 v[13:14], v[3:4], v[13:14], s[44:45]
	s_mov_b32 s44, 0x55555511
	s_mov_b32 s45, 0x3fc55555
	v_add_f64 v[5:6], v[5:6], s[22:23]
	s_mov_b32 s22, 0x555502a1
	s_mov_b32 s23, 0x3fa55555
	v_fma_f64 v[13:14], v[3:4], v[13:14], s[22:23]
	s_mov_b32 s22, 0xc057cd8d
	s_mov_b32 s23, 0xbfd37feb
	v_fma_f64 v[9:10], v[0:1], v[5:6], -v[9:10]
	v_fma_f64 v[13:14], v[3:4], v[13:14], s[44:45]
	v_add_f64 v[9:10], v[9:10], s[22:23]
	s_mov_b32 s22, 11
	s_mov_b32 s23, 0x3fe00000
	v_fma_f64 v[13:14], v[3:4], v[13:14], s[22:23]
	s_mov_b32 s22, 0x9035a22a
	s_mov_b32 s23, 0x3fe5a84e
	v_fma_f64 v[0:1], v[0:1], v[9:10], -v[5:6]
	v_fma_f64 v[9:10], v[3:4], v[13:14], 1.0
	v_add_f64 v[0:1], v[0:1], s[22:23]
	v_fma_f64 v[3:4], v[3:4], v[9:10], 1.0
	v_add_f64 v[0:1], v[0:1], -v[5:6]
	v_ldexp_f64 v[3:4], v[3:4], v7
	v_mul_f64 v[0:1], v[0:1], 0.5
	v_mul_f64 v[0:1], v[3:4], v[0:1]
                                        ; implicit-def: $vgpr3_vgpr4
.LBB9_703:
	s_andn2_saveexec_b32 s22, s0
	s_cbranch_execz .LBB9_705
; %bb.704:
	v_and_b32_e32 v1, 0x7fffffff, v4
	v_mov_b32_e32 v0, v3
	s_mov_b32 s44, 0x66119130
	s_mov_b32 s45, 0xbc5646da
	;; [unrolled: 1-line block ×4, first 2 shown]
	v_div_scale_f64 v[5:6], null, v[0:1], v[0:1], 0x40400000
	v_div_scale_f64 v[0:1], vcc_lo, 0x40400000, v[0:1], 0x40400000
	v_cmp_gt_f64_e64 s0, 0x10000000, |v[3:4]|
	v_rcp_f64_e32 v[9:10], v[5:6]
	v_cndmask_b32_e64 v7, 0, 0x100, s0
	v_ldexp_f64 v[17:18], |v[3:4]|, v7
	v_fma_f64 v[11:12], -v[5:6], v[9:10], 1.0
	v_rsq_f64_e32 v[19:20], v[17:18]
	v_fma_f64 v[9:10], v[9:10], v[11:12], v[9:10]
	v_mul_f64 v[21:22], v[17:18], v[19:20]
	v_mul_f64 v[19:20], v[19:20], 0.5
	v_fma_f64 v[11:12], -v[5:6], v[9:10], 1.0
	v_fma_f64 v[23:24], -v[19:20], v[21:22], 0.5
	v_fma_f64 v[9:10], v[9:10], v[11:12], v[9:10]
	v_fma_f64 v[21:22], v[21:22], v[23:24], v[21:22]
	;; [unrolled: 1-line block ×3, first 2 shown]
	v_mul_f64 v[11:12], v[0:1], v[9:10]
	v_fma_f64 v[23:24], -v[21:22], v[21:22], v[17:18]
	v_fma_f64 v[0:1], -v[5:6], v[11:12], v[0:1]
	v_div_fmas_f64 v[0:1], v[0:1], v[9:10], v[11:12]
	v_cmp_nlt_f64_e64 vcc_lo, 0x40900000, |v[3:4]|
	v_div_fixup_f64 v[0:1], v[0:1], |v[3:4]|, 0x40400000
	v_add_f64 v[0:1], v[0:1], -2.0
	v_fma_f64 v[5:6], v[0:1], s[46:47], s[44:45]
	s_mov_b32 s47, 0x3c60adb7
	s_mov_b32 s44, 0x12d98421
	s_mov_b32 s45, 0x3c89be18
	v_fma_f64 v[9:10], v[0:1], v[5:6], s[46:47]
	s_mov_b32 s46, 0x6a5dcb37
	s_mov_b32 s47, 0x3e5ade15
	v_add_f64 v[9:10], v[9:10], s[44:45]
	s_mov_b32 s44, 0x76041cd
	s_mov_b32 s45, 0x3c83f3dd
	v_fma_f64 v[5:6], v[0:1], v[9:10], -v[5:6]
	v_add_f64 v[5:6], v[5:6], s[44:45]
	s_mov_b32 s44, 0xabd21fe4
	s_mov_b32 s45, 0xbcb4600b
	v_fma_f64 v[9:10], v[0:1], v[5:6], -v[9:10]
	;; [unrolled: 4-line block ×15, first 2 shown]
	v_add_f64 v[5:6], v[5:6], s[44:45]
	s_mov_b32 s44, 0x652b82fe
	s_mov_b32 s45, 0x3ff71547
	v_mul_f64 v[11:12], |v[3:4]|, s[44:45]
	s_mov_b32 s44, 0xa9225b87
	s_mov_b32 s45, 0x3e2d2c64
	v_fma_f64 v[9:10], v[0:1], v[5:6], -v[9:10]
	v_rndne_f64_e32 v[11:12], v[11:12]
	v_add_f64 v[9:10], v[9:10], s[44:45]
	s_mov_b32 s44, 0xfefa39ef
	s_mov_b32 s45, 0xbfe62e42
	v_fma_f64 v[13:14], v[11:12], s[44:45], |v[3:4]|
	s_mov_b32 s44, 0x3b39803f
	s_mov_b32 s45, 0xbc7abc9e
	v_cvt_i32_f64_e32 v7, v[11:12]
	v_cndmask_b32_e64 v3, 0, 0xffffff80, s0
	v_cmp_class_f64_e64 s0, v[17:18], 0x260
	v_fma_f64 v[5:6], v[0:1], v[9:10], -v[5:6]
	v_fma_f64 v[13:14], v[11:12], s[44:45], v[13:14]
	s_mov_b32 s44, 0x80d6d56d
	s_mov_b32 s45, 0x3e585692
	v_add_f64 v[5:6], v[5:6], s[44:45]
	s_mov_b32 s44, 0xfca7ab0c
	s_mov_b32 s45, 0x3e928af3
	v_fma_f64 v[15:16], v[13:14], s[46:47], s[44:45]
	s_mov_b32 s44, 0x623fde64
	s_mov_b32 s45, 0x3ec71dee
	v_fma_f64 v[9:10], v[0:1], v[5:6], -v[9:10]
	v_fma_f64 v[15:16], v[13:14], v[15:16], s[44:45]
	s_mov_b32 s44, 0xd9cd616e
	s_mov_b32 s45, 0x3e8b8007
	v_add_f64 v[9:10], v[9:10], s[44:45]
	s_mov_b32 s44, 0x7c89e6b0
	s_mov_b32 s45, 0x3efa0199
	v_fma_f64 v[15:16], v[13:14], v[15:16], s[44:45]
	s_mov_b32 s44, 0x14761f6e
	s_mov_b32 s45, 0x3f2a01a0
	;; [unrolled: 10-line block ×5, first 2 shown]
	v_fma_f64 v[0:1], v[0:1], v[5:6], -v[9:10]
	v_fma_f64 v[5:6], v[23:24], v[19:20], v[21:22]
	v_fma_f64 v[15:16], v[13:14], v[15:16], 1.0
	v_add_f64 v[0:1], v[0:1], s[44:45]
	v_fma_f64 v[21:22], -v[5:6], v[5:6], v[17:18]
	v_fma_f64 v[11:12], v[13:14], v[15:16], 1.0
	v_add_f64 v[0:1], v[0:1], -v[9:10]
	v_fma_f64 v[5:6], v[21:22], v[19:20], v[5:6]
	v_ldexp_f64 v[9:10], v[11:12], v7
	v_mul_f64 v[0:1], v[0:1], 0.5
	v_ldexp_f64 v[3:4], v[5:6], v3
	v_cndmask_b32_e32 v6, 0x7ff00000, v10, vcc_lo
	v_cndmask_b32_e32 v5, 0, v9, vcc_lo
	v_mul_f64 v[0:1], v[5:6], v[0:1]
	v_cndmask_b32_e64 v4, v4, v18, s0
	v_cndmask_b32_e64 v3, v3, v17, s0
	v_div_scale_f64 v[5:6], null, v[3:4], v[3:4], v[0:1]
	v_rcp_f64_e32 v[9:10], v[5:6]
	v_fma_f64 v[11:12], -v[5:6], v[9:10], 1.0
	v_fma_f64 v[9:10], v[9:10], v[11:12], v[9:10]
	v_fma_f64 v[11:12], -v[5:6], v[9:10], 1.0
	v_fma_f64 v[9:10], v[9:10], v[11:12], v[9:10]
	v_div_scale_f64 v[11:12], vcc_lo, v[0:1], v[3:4], v[0:1]
	v_mul_f64 v[13:14], v[11:12], v[9:10]
	v_fma_f64 v[5:6], -v[5:6], v[13:14], v[11:12]
	v_div_fmas_f64 v[5:6], v[5:6], v[9:10], v[13:14]
	v_div_fixup_f64 v[0:1], v[5:6], v[3:4], v[0:1]
.LBB9_705:
	s_or_b32 exec_lo, exec_lo, s22
	v_add_co_u32 v4, s0, s8, v2
	v_add_co_ci_u32_e64 v5, null, s9, 0, s0
	s_and_b32 s22, s29, 0xff
	s_cmp_lt_i32 s22, 11
	s_cbranch_scc1 .LBB9_713
; %bb.706:
	s_and_b32 s23, 0xffff, s22
	s_cmp_gt_i32 s23, 25
	s_cbranch_scc0 .LBB9_714
; %bb.707:
	s_cmp_gt_i32 s23, 28
	s_cbranch_scc0 .LBB9_715
; %bb.708:
	;; [unrolled: 3-line block ×4, first 2 shown]
	s_mov_b32 s44, 0
	s_mov_b32 s0, -1
	s_cmp_eq_u32 s23, 46
	s_mov_b32 s43, 0
	s_cbranch_scc0 .LBB9_718
; %bb.711:
	v_cvt_f32_f64_e32 v2, v[0:1]
	s_mov_b32 s43, -1
	s_mov_b32 s0, 0
	v_bfe_u32 v3, v2, 16, 1
	v_cmp_o_f32_e32 vcc_lo, v2, v2
	v_add3_u32 v2, v2, v3, 0x7fff
	v_mov_b32_e32 v3, 0x7fc0
	v_cndmask_b32_sdwa v2, v3, v2, vcc_lo dst_sel:DWORD dst_unused:UNUSED_PAD src0_sel:DWORD src1_sel:WORD_1
	global_store_dword v[4:5], v2, off
	s_branch .LBB9_718
.LBB9_712:
	s_mov_b32 s43, 0
	s_mov_b32 s0, s40
	s_branch .LBB9_829
.LBB9_713:
	s_mov_b32 s23, -1
	s_mov_b32 s43, 0
	s_mov_b32 s0, s40
	s_branch .LBB9_787
.LBB9_714:
	s_mov_b32 s44, -1
	s_mov_b32 s43, 0
	s_mov_b32 s0, s40
	s_branch .LBB9_745
.LBB9_715:
	s_mov_b32 s44, -1
	s_mov_b32 s43, 0
	s_mov_b32 s0, s40
	s_branch .LBB9_728
.LBB9_716:
	s_mov_b32 s44, -1
	s_mov_b32 s43, 0
	s_mov_b32 s0, s40
	s_branch .LBB9_724
.LBB9_717:
	s_mov_b32 s44, -1
	s_mov_b32 s43, 0
	s_mov_b32 s0, s40
.LBB9_718:
	s_and_b32 vcc_lo, exec_lo, s44
	s_cbranch_vccz .LBB9_723
; %bb.719:
	s_cmp_eq_u32 s23, 44
	s_mov_b32 s0, -1
	s_cbranch_scc0 .LBB9_723
; %bb.720:
	v_cvt_f32_f64_e32 v2, v[0:1]
	v_mov_b32_e32 v3, 0xff
	s_mov_b32 s43, exec_lo
	v_bfe_u32 v6, v2, 23, 8
	v_cmpx_ne_u32_e32 0xff, v6
	s_cbranch_execz .LBB9_722
; %bb.721:
	v_and_b32_e32 v3, 0x400000, v2
	v_and_or_b32 v6, 0x3fffff, v2, v6
	v_lshrrev_b32_e32 v2, 23, v2
	v_cmp_ne_u32_e32 vcc_lo, 0, v3
	v_cmp_ne_u32_e64 s0, 0, v6
	s_and_b32 s0, vcc_lo, s0
	v_cndmask_b32_e64 v3, 0, 1, s0
	v_add_nc_u32_e32 v3, v2, v3
.LBB9_722:
	s_or_b32 exec_lo, exec_lo, s43
	s_mov_b32 s43, -1
	s_mov_b32 s0, 0
	global_store_byte v[4:5], v3, off
.LBB9_723:
	s_mov_b32 s44, 0
.LBB9_724:
	s_and_b32 vcc_lo, exec_lo, s44
	s_cbranch_vccz .LBB9_727
; %bb.725:
	s_cmp_eq_u32 s23, 29
	s_mov_b32 s0, -1
	s_cbranch_scc0 .LBB9_727
; %bb.726:
	v_trunc_f64_e32 v[2:3], v[0:1]
	s_mov_b32 s43, -1
	s_mov_b32 s0, 0
	s_mov_b32 s44, 0
	v_ldexp_f64 v[6:7], v[2:3], 0xffffffe0
	v_floor_f64_e32 v[6:7], v[6:7]
	v_fma_f64 v[2:3], 0xc1f00000, v[6:7], v[2:3]
	v_cvt_u32_f64_e32 v7, v[6:7]
	v_cvt_u32_f64_e32 v6, v[2:3]
	global_store_dwordx2 v[4:5], v[6:7], off
	s_branch .LBB9_728
.LBB9_727:
	s_mov_b32 s44, 0
.LBB9_728:
	s_and_b32 vcc_lo, exec_lo, s44
	s_cbranch_vccz .LBB9_744
; %bb.729:
	s_cmp_lt_i32 s23, 27
	s_mov_b32 s43, -1
	s_cbranch_scc1 .LBB9_735
; %bb.730:
	v_cvt_u32_f64_e32 v2, v[0:1]
	s_cmp_gt_i32 s23, 27
	s_cbranch_scc0 .LBB9_732
; %bb.731:
	s_mov_b32 s43, 0
	global_store_dword v[4:5], v2, off
.LBB9_732:
	s_andn2_b32 vcc_lo, exec_lo, s43
	s_cbranch_vccnz .LBB9_734
; %bb.733:
	global_store_short v[4:5], v2, off
.LBB9_734:
	s_mov_b32 s43, 0
.LBB9_735:
	s_andn2_b32 vcc_lo, exec_lo, s43
	s_cbranch_vccnz .LBB9_743
; %bb.736:
	v_cvt_f32_f64_e32 v2, v[0:1]
	v_mov_b32_e32 v6, 0x80
	s_mov_b32 s43, exec_lo
	v_and_b32_e32 v3, 0x7fffffff, v2
	v_cmpx_gt_u32_e32 0x43800000, v3
	s_cbranch_execz .LBB9_742
; %bb.737:
	v_cmp_lt_u32_e32 vcc_lo, 0x3bffffff, v3
	s_mov_b32 s44, 0
                                        ; implicit-def: $vgpr3
	s_and_saveexec_b32 s45, vcc_lo
	s_xor_b32 s45, exec_lo, s45
	s_cbranch_execz .LBB9_859
; %bb.738:
	v_bfe_u32 v3, v2, 20, 1
	s_mov_b32 s44, exec_lo
	v_add3_u32 v3, v2, v3, 0x487ffff
	v_lshrrev_b32_e32 v3, 20, v3
	s_andn2_saveexec_b32 s45, s45
	s_cbranch_execnz .LBB9_860
.LBB9_739:
	s_or_b32 exec_lo, exec_lo, s45
	v_mov_b32_e32 v6, 0
	s_and_saveexec_b32 s45, s44
.LBB9_740:
	v_lshrrev_b32_e32 v2, 24, v2
	v_and_or_b32 v6, 0x80, v2, v3
.LBB9_741:
	s_or_b32 exec_lo, exec_lo, s45
.LBB9_742:
	s_or_b32 exec_lo, exec_lo, s43
	global_store_byte v[4:5], v6, off
.LBB9_743:
	s_mov_b32 s43, -1
.LBB9_744:
	s_mov_b32 s44, 0
.LBB9_745:
	s_and_b32 vcc_lo, exec_lo, s44
	s_cbranch_vccz .LBB9_786
; %bb.746:
	s_cmp_gt_i32 s23, 22
	s_mov_b32 s44, -1
	s_cbranch_scc0 .LBB9_778
; %bb.747:
	s_cmp_lt_i32 s23, 24
	s_mov_b32 s43, -1
	s_cbranch_scc1 .LBB9_767
; %bb.748:
	s_cmp_gt_i32 s23, 24
	s_cbranch_scc0 .LBB9_756
; %bb.749:
	v_cvt_f32_f64_e32 v2, v[0:1]
	v_mov_b32_e32 v6, 0x80
	s_mov_b32 s43, exec_lo
	v_and_b32_e32 v3, 0x7fffffff, v2
	v_cmpx_gt_u32_e32 0x47800000, v3
	s_cbranch_execz .LBB9_755
; %bb.750:
	v_cmp_lt_u32_e32 vcc_lo, 0x37ffffff, v3
	s_mov_b32 s44, 0
                                        ; implicit-def: $vgpr3
	s_and_saveexec_b32 s45, vcc_lo
	s_xor_b32 s45, exec_lo, s45
	s_cbranch_execz .LBB9_862
; %bb.751:
	v_bfe_u32 v3, v2, 21, 1
	s_mov_b32 s44, exec_lo
	v_add3_u32 v3, v2, v3, 0x88fffff
	v_lshrrev_b32_e32 v3, 21, v3
	s_andn2_saveexec_b32 s45, s45
	s_cbranch_execnz .LBB9_863
.LBB9_752:
	s_or_b32 exec_lo, exec_lo, s45
	v_mov_b32_e32 v6, 0
	s_and_saveexec_b32 s45, s44
.LBB9_753:
	v_lshrrev_b32_e32 v2, 24, v2
	v_and_or_b32 v6, 0x80, v2, v3
.LBB9_754:
	s_or_b32 exec_lo, exec_lo, s45
.LBB9_755:
	s_or_b32 exec_lo, exec_lo, s43
	s_mov_b32 s43, 0
	global_store_byte v[4:5], v6, off
.LBB9_756:
	s_and_b32 vcc_lo, exec_lo, s43
	s_cbranch_vccz .LBB9_766
; %bb.757:
	v_cvt_f32_f64_e32 v2, v[0:1]
	s_mov_b32 s43, exec_lo
                                        ; implicit-def: $vgpr3
	v_and_b32_e32 v6, 0x7fffffff, v2
	v_cmpx_gt_u32_e32 0x43f00000, v6
	s_xor_b32 s43, exec_lo, s43
	s_cbranch_execz .LBB9_763
; %bb.758:
	s_mov_b32 s44, exec_lo
                                        ; implicit-def: $vgpr3
	v_cmpx_lt_u32_e32 0x3c7fffff, v6
	s_xor_b32 s44, exec_lo, s44
; %bb.759:
	v_bfe_u32 v3, v2, 20, 1
	v_add3_u32 v3, v2, v3, 0x407ffff
	v_and_b32_e32 v6, 0xff00000, v3
	v_lshrrev_b32_e32 v3, 20, v3
	v_cmp_ne_u32_e32 vcc_lo, 0x7f00000, v6
	v_cndmask_b32_e32 v3, 0x7e, v3, vcc_lo
; %bb.760:
	s_andn2_saveexec_b32 s44, s44
; %bb.761:
	v_add_f32_e64 v3, 0x46800000, |v2|
; %bb.762:
	s_or_b32 exec_lo, exec_lo, s44
                                        ; implicit-def: $vgpr6
.LBB9_763:
	s_andn2_saveexec_b32 s43, s43
; %bb.764:
	v_mov_b32_e32 v3, 0x7f
	v_cmp_lt_u32_e32 vcc_lo, 0x7f800000, v6
	v_cndmask_b32_e32 v3, 0x7e, v3, vcc_lo
; %bb.765:
	s_or_b32 exec_lo, exec_lo, s43
	v_lshrrev_b32_e32 v2, 24, v2
	v_and_or_b32 v2, 0x80, v2, v3
	global_store_byte v[4:5], v2, off
.LBB9_766:
	s_mov_b32 s43, 0
.LBB9_767:
	s_andn2_b32 vcc_lo, exec_lo, s43
	s_cbranch_vccnz .LBB9_777
; %bb.768:
	v_cvt_f32_f64_e32 v2, v[0:1]
	s_mov_b32 s43, exec_lo
                                        ; implicit-def: $vgpr3
	v_and_b32_e32 v6, 0x7fffffff, v2
	v_cmpx_gt_u32_e32 0x47800000, v6
	s_xor_b32 s43, exec_lo, s43
	s_cbranch_execz .LBB9_774
; %bb.769:
	s_mov_b32 s44, exec_lo
                                        ; implicit-def: $vgpr3
	v_cmpx_lt_u32_e32 0x387fffff, v6
	s_xor_b32 s44, exec_lo, s44
; %bb.770:
	v_bfe_u32 v3, v2, 21, 1
	v_add3_u32 v3, v2, v3, 0x80fffff
	v_lshrrev_b32_e32 v3, 21, v3
; %bb.771:
	s_andn2_saveexec_b32 s44, s44
; %bb.772:
	v_add_f32_e64 v3, 0x43000000, |v2|
; %bb.773:
	s_or_b32 exec_lo, exec_lo, s44
                                        ; implicit-def: $vgpr6
.LBB9_774:
	s_andn2_saveexec_b32 s43, s43
; %bb.775:
	v_mov_b32_e32 v3, 0x7f
	v_cmp_lt_u32_e32 vcc_lo, 0x7f800000, v6
	v_cndmask_b32_e32 v3, 0x7c, v3, vcc_lo
; %bb.776:
	s_or_b32 exec_lo, exec_lo, s43
	v_lshrrev_b32_e32 v2, 24, v2
	v_and_or_b32 v2, 0x80, v2, v3
	global_store_byte v[4:5], v2, off
.LBB9_777:
	s_mov_b32 s44, 0
	s_mov_b32 s43, -1
.LBB9_778:
	s_andn2_b32 vcc_lo, exec_lo, s44
	s_cbranch_vccnz .LBB9_786
; %bb.779:
	s_cmp_gt_i32 s23, 14
	s_mov_b32 s44, -1
	s_cbranch_scc0 .LBB9_783
; %bb.780:
	s_cmp_eq_u32 s23, 15
	s_mov_b32 s0, -1
	s_cbranch_scc0 .LBB9_782
; %bb.781:
	v_cvt_f32_f64_e32 v2, v[0:1]
	s_mov_b32 s43, -1
	s_mov_b32 s0, 0
	v_bfe_u32 v3, v2, 16, 1
	v_cmp_o_f32_e32 vcc_lo, v2, v2
	v_add3_u32 v2, v2, v3, 0x7fff
	v_mov_b32_e32 v3, 0x7fc0
	v_cndmask_b32_sdwa v2, v3, v2, vcc_lo dst_sel:DWORD dst_unused:UNUSED_PAD src0_sel:DWORD src1_sel:WORD_1
	global_store_short v[4:5], v2, off
.LBB9_782:
	s_mov_b32 s44, 0
.LBB9_783:
	s_and_b32 vcc_lo, exec_lo, s44
	s_cbranch_vccz .LBB9_786
; %bb.784:
	s_cmp_eq_u32 s23, 11
	s_mov_b32 s0, -1
	s_cbranch_scc0 .LBB9_786
; %bb.785:
	v_cmp_neq_f64_e32 vcc_lo, 0, v[0:1]
	s_mov_b32 s43, -1
	s_mov_b32 s0, 0
	v_cndmask_b32_e64 v2, 0, 1, vcc_lo
	global_store_byte v[4:5], v2, off
.LBB9_786:
	s_mov_b32 s23, 0
.LBB9_787:
	s_and_b32 vcc_lo, exec_lo, s23
	s_cbranch_vccz .LBB9_826
; %bb.788:
	s_and_b32 s22, 0xffff, s22
	s_mov_b32 s23, -1
	s_cmp_lt_i32 s22, 5
	s_cbranch_scc1 .LBB9_809
; %bb.789:
	s_cmp_lt_i32 s22, 8
	s_cbranch_scc1 .LBB9_799
; %bb.790:
	;; [unrolled: 3-line block ×3, first 2 shown]
	s_cmp_gt_i32 s22, 9
	s_cbranch_scc0 .LBB9_793
; %bb.792:
	v_mov_b32_e32 v2, 0
	s_mov_b32 s23, 0
	v_mov_b32_e32 v3, v2
	global_store_dwordx4 v[4:5], v[0:3], off
.LBB9_793:
	s_andn2_b32 vcc_lo, exec_lo, s23
	s_cbranch_vccnz .LBB9_795
; %bb.794:
	v_cvt_f32_f64_e32 v2, v[0:1]
	v_mov_b32_e32 v3, 0
	global_store_dwordx2 v[4:5], v[2:3], off
.LBB9_795:
	s_mov_b32 s23, 0
.LBB9_796:
	s_andn2_b32 vcc_lo, exec_lo, s23
	s_cbranch_vccnz .LBB9_798
; %bb.797:
	v_and_or_b32 v2, 0x1ff, v1, v0
	v_lshrrev_b32_e32 v3, 8, v1
	v_bfe_u32 v6, v1, 20, 11
	v_cmp_ne_u32_e32 vcc_lo, 0, v2
	v_sub_nc_u32_e32 v7, 0x3f1, v6
	v_add_nc_u32_e32 v6, 0xfffffc10, v6
	v_cndmask_b32_e64 v2, 0, 1, vcc_lo
	v_and_or_b32 v2, 0xffe, v3, v2
	v_med3_i32 v3, v7, 0, 13
	v_or_b32_e32 v7, 0x1000, v2
	v_lshrrev_b32_e32 v9, v3, v7
	v_lshlrev_b32_e32 v3, v3, v9
	v_cmp_ne_u32_e32 vcc_lo, v3, v7
	v_lshl_or_b32 v7, v6, 12, v2
	v_cndmask_b32_e64 v3, 0, 1, vcc_lo
	v_cmp_gt_i32_e32 vcc_lo, 1, v6
	v_or_b32_e32 v3, v9, v3
	v_cndmask_b32_e32 v3, v7, v3, vcc_lo
	v_and_b32_e32 v7, 7, v3
	v_lshrrev_b32_e32 v3, 2, v3
	v_cmp_lt_i32_e32 vcc_lo, 5, v7
	v_cndmask_b32_e64 v9, 0, 1, vcc_lo
	v_cmp_eq_u32_e32 vcc_lo, 3, v7
	v_cndmask_b32_e64 v7, 0, 1, vcc_lo
	v_cmp_ne_u32_e32 vcc_lo, 0, v2
	v_or_b32_e32 v7, v7, v9
	v_mov_b32_e32 v9, 0x7e00
	v_add_nc_u32_e32 v3, v3, v7
	v_cndmask_b32_e32 v2, 0x7c00, v9, vcc_lo
	v_cmp_gt_i32_e32 vcc_lo, 31, v6
	v_cndmask_b32_e32 v3, 0x7c00, v3, vcc_lo
	v_cmp_eq_u32_e32 vcc_lo, 0x40f, v6
	v_cndmask_b32_e32 v2, v3, v2, vcc_lo
	v_lshrrev_b32_e32 v3, 16, v1
	v_and_or_b32 v2, 0x8000, v3, v2
	v_and_b32_e32 v2, 0xffff, v2
	global_store_dword v[4:5], v2, off
.LBB9_798:
	s_mov_b32 s23, 0
.LBB9_799:
	s_andn2_b32 vcc_lo, exec_lo, s23
	s_cbranch_vccnz .LBB9_808
; %bb.800:
	s_cmp_lt_i32 s22, 6
	s_mov_b32 s23, -1
	s_cbranch_scc1 .LBB9_806
; %bb.801:
	s_cmp_gt_i32 s22, 6
	s_cbranch_scc0 .LBB9_803
; %bb.802:
	s_mov_b32 s23, 0
	global_store_dwordx2 v[4:5], v[0:1], off
.LBB9_803:
	s_andn2_b32 vcc_lo, exec_lo, s23
	s_cbranch_vccnz .LBB9_805
; %bb.804:
	v_cvt_f32_f64_e32 v2, v[0:1]
	global_store_dword v[4:5], v2, off
.LBB9_805:
	s_mov_b32 s23, 0
.LBB9_806:
	s_andn2_b32 vcc_lo, exec_lo, s23
	s_cbranch_vccnz .LBB9_808
; %bb.807:
	v_and_or_b32 v2, 0x1ff, v1, v0
	v_lshrrev_b32_e32 v3, 8, v1
	v_bfe_u32 v6, v1, 20, 11
	v_cmp_ne_u32_e32 vcc_lo, 0, v2
	v_sub_nc_u32_e32 v7, 0x3f1, v6
	v_add_nc_u32_e32 v6, 0xfffffc10, v6
	v_cndmask_b32_e64 v2, 0, 1, vcc_lo
	v_and_or_b32 v2, 0xffe, v3, v2
	v_med3_i32 v3, v7, 0, 13
	v_or_b32_e32 v7, 0x1000, v2
	v_lshrrev_b32_e32 v9, v3, v7
	v_lshlrev_b32_e32 v3, v3, v9
	v_cmp_ne_u32_e32 vcc_lo, v3, v7
	v_lshl_or_b32 v7, v6, 12, v2
	v_cndmask_b32_e64 v3, 0, 1, vcc_lo
	v_cmp_gt_i32_e32 vcc_lo, 1, v6
	v_or_b32_e32 v3, v9, v3
	v_cndmask_b32_e32 v3, v7, v3, vcc_lo
	v_and_b32_e32 v7, 7, v3
	v_lshrrev_b32_e32 v3, 2, v3
	v_cmp_lt_i32_e32 vcc_lo, 5, v7
	v_cndmask_b32_e64 v9, 0, 1, vcc_lo
	v_cmp_eq_u32_e32 vcc_lo, 3, v7
	v_cndmask_b32_e64 v7, 0, 1, vcc_lo
	v_cmp_ne_u32_e32 vcc_lo, 0, v2
	v_or_b32_e32 v7, v7, v9
	v_mov_b32_e32 v9, 0x7e00
	v_add_nc_u32_e32 v3, v3, v7
	v_cndmask_b32_e32 v2, 0x7c00, v9, vcc_lo
	v_cmp_gt_i32_e32 vcc_lo, 31, v6
	v_cndmask_b32_e32 v3, 0x7c00, v3, vcc_lo
	v_cmp_eq_u32_e32 vcc_lo, 0x40f, v6
	v_cndmask_b32_e32 v2, v3, v2, vcc_lo
	v_lshrrev_b32_e32 v3, 16, v1
	v_and_or_b32 v2, 0x8000, v3, v2
	global_store_short v[4:5], v2, off
.LBB9_808:
	s_mov_b32 s23, 0
.LBB9_809:
	s_andn2_b32 vcc_lo, exec_lo, s23
	s_cbranch_vccnz .LBB9_825
; %bb.810:
	s_cmp_lt_i32 s22, 2
	s_mov_b32 s23, -1
	s_cbranch_scc1 .LBB9_820
; %bb.811:
	s_cmp_lt_i32 s22, 3
	s_cbranch_scc1 .LBB9_817
; %bb.812:
	s_cmp_gt_i32 s22, 3
	s_cbranch_scc0 .LBB9_814
; %bb.813:
	v_trunc_f64_e32 v[2:3], v[0:1]
	s_mov_b32 s23, 0
	v_ldexp_f64 v[6:7], v[2:3], 0xffffffe0
	v_floor_f64_e32 v[6:7], v[6:7]
	v_fma_f64 v[2:3], 0xc1f00000, v[6:7], v[2:3]
	v_cvt_i32_f64_e32 v7, v[6:7]
	v_cvt_u32_f64_e32 v6, v[2:3]
	global_store_dwordx2 v[4:5], v[6:7], off
.LBB9_814:
	s_andn2_b32 vcc_lo, exec_lo, s23
	s_cbranch_vccnz .LBB9_816
; %bb.815:
	v_cvt_i32_f64_e32 v2, v[0:1]
	global_store_dword v[4:5], v2, off
.LBB9_816:
	s_mov_b32 s23, 0
.LBB9_817:
	s_andn2_b32 vcc_lo, exec_lo, s23
	s_cbranch_vccnz .LBB9_819
; %bb.818:
	v_cvt_i32_f64_e32 v2, v[0:1]
	global_store_short v[4:5], v2, off
.LBB9_819:
	s_mov_b32 s23, 0
.LBB9_820:
	s_andn2_b32 vcc_lo, exec_lo, s23
	s_cbranch_vccnz .LBB9_825
; %bb.821:
	s_cmp_gt_i32 s22, 0
	s_mov_b32 s22, -1
	s_cbranch_scc0 .LBB9_823
; %bb.822:
	v_cvt_i32_f64_e32 v2, v[0:1]
	s_mov_b32 s22, 0
	global_store_byte v[4:5], v2, off
.LBB9_823:
	s_andn2_b32 vcc_lo, exec_lo, s22
	s_cbranch_vccnz .LBB9_825
; %bb.824:
	v_trunc_f64_e32 v[0:1], v[0:1]
	v_ldexp_f64 v[2:3], v[0:1], 0xffffffe0
	v_floor_f64_e32 v[2:3], v[2:3]
	v_fma_f64 v[0:1], 0xc1f00000, v[2:3], v[0:1]
	v_cvt_u32_f64_e32 v0, v[0:1]
	global_store_byte v[4:5], v0, off
.LBB9_825:
	s_mov_b32 s43, -1
.LBB9_826:
	s_andn2_b32 vcc_lo, exec_lo, s43
	s_cbranch_vccnz .LBB9_828
; %bb.827:
	v_add_nc_u32_e32 v8, 0x80, v8
	s_mov_b32 s43, -1
	s_branch .LBB9_830
.LBB9_828:
	s_mov_b32 s43, 0
.LBB9_829:
                                        ; implicit-def: $vgpr8
.LBB9_830:
	s_andn2_b32 s22, s40, exec_lo
	s_and_b32 s0, s0, exec_lo
	s_andn2_b32 s44, s39, exec_lo
	s_and_b32 s1, s1, exec_lo
	s_or_b32 s23, s22, s0
	s_or_b32 s22, s44, s1
	s_orn2_b32 s44, s43, exec_lo
.LBB9_831:
	s_or_b32 exec_lo, exec_lo, s42
	s_mov_b32 s0, 0
	s_mov_b32 s1, 0
	;; [unrolled: 1-line block ×3, first 2 shown]
                                        ; implicit-def: $vgpr0_vgpr1
                                        ; implicit-def: $vgpr2
                                        ; implicit-def: $vgpr3_vgpr4
	s_and_saveexec_b32 s42, s44
	s_cbranch_execz .LBB9_931
; %bb.832:
	v_cmp_gt_i32_e32 vcc_lo, s33, v8
	s_mov_b32 s45, s22
	s_mov_b32 s44, 0
                                        ; implicit-def: $vgpr0_vgpr1
                                        ; implicit-def: $vgpr2
                                        ; implicit-def: $vgpr3_vgpr4
	s_and_saveexec_b32 s33, vcc_lo
	s_cbranch_execz .LBB9_930
; %bb.833:
	s_andn2_b32 vcc_lo, exec_lo, s27
	s_cbranch_vccnz .LBB9_838
; %bb.834:
	s_andn2_b32 vcc_lo, exec_lo, s34
	s_cbranch_vccnz .LBB9_839
; %bb.835:
	s_add_i32 s35, s35, 1
	s_cmp_eq_u32 s25, 2
	s_cbranch_scc1 .LBB9_840
; %bb.836:
	v_mov_b32_e32 v0, 0
	v_mov_b32_e32 v2, 0
	;; [unrolled: 1-line block ×3, first 2 shown]
	s_and_b32 s34, s35, 28
	s_mov_b64 s[0:1], s[2:3]
.LBB9_837:                              ; =>This Inner Loop Header: Depth=1
	s_clause 0x1
	s_load_dwordx8 s[44:51], s[0:1], 0x4
	s_load_dwordx4 s[60:63], s[0:1], 0x24
	s_load_dwordx8 s[52:59], s[20:21], 0x0
	s_add_u32 s0, s0, 48
	s_addc_u32 s1, s1, 0
	s_add_i32 s43, s43, 4
	s_add_u32 s20, s20, 32
	s_addc_u32 s21, s21, 0
	s_cmp_eq_u32 s34, s43
	s_waitcnt vmcnt(0) lgkmcnt(0)
	v_mul_hi_u32 v3, s45, v1
	v_add_nc_u32_e32 v3, v1, v3
	v_lshrrev_b32_e32 v3, s46, v3
	v_mul_hi_u32 v4, s48, v3
	v_mul_lo_u32 v6, v3, s44
	v_add_nc_u32_e32 v4, v3, v4
	v_sub_nc_u32_e32 v1, v1, v6
	v_lshrrev_b32_e32 v4, s49, v4
	v_mul_lo_u32 v6, v1, s52
	v_mul_lo_u32 v9, v1, s53
	v_mul_hi_u32 v5, s51, v4
	v_add_nc_u32_e32 v5, v4, v5
	v_lshrrev_b32_e32 v5, s60, v5
	v_mul_hi_u32 v7, s62, v5
	v_mul_lo_u32 v10, v5, s50
	v_add_nc_u32_e32 v1, v5, v7
	v_mul_lo_u32 v7, v4, s47
	v_sub_nc_u32_e32 v4, v4, v10
	v_lshrrev_b32_e32 v1, s63, v1
	v_mul_lo_u32 v10, v4, s56
	v_mul_lo_u32 v4, v4, s57
	v_sub_nc_u32_e32 v3, v3, v7
	v_mul_lo_u32 v11, v1, s61
	v_mul_lo_u32 v7, v3, s54
	;; [unrolled: 1-line block ×3, first 2 shown]
	v_sub_nc_u32_e32 v5, v5, v11
	v_add3_u32 v2, v6, v2, v7
	v_mul_lo_u32 v11, v5, s58
	v_mul_lo_u32 v5, v5, s59
	v_add3_u32 v0, v9, v0, v3
	v_add3_u32 v2, v10, v2, v11
	;; [unrolled: 1-line block ×3, first 2 shown]
	s_cbranch_scc0 .LBB9_837
	s_branch .LBB9_841
.LBB9_838:
	s_mov_b32 s0, -1
                                        ; implicit-def: $vgpr2
                                        ; implicit-def: $vgpr0
	s_branch .LBB9_845
.LBB9_839:
	v_mov_b32_e32 v2, 0
	v_mov_b32_e32 v0, 0
	s_branch .LBB9_844
.LBB9_840:
	v_mov_b32_e32 v2, 0
	v_mov_b32_e32 v0, 0
	;; [unrolled: 1-line block ×3, first 2 shown]
	s_mov_b32 s34, 0
.LBB9_841:
	s_and_b32 s35, s35, 3
	s_cmp_eq_u32 s35, 0
	s_cbranch_scc1 .LBB9_844
; %bb.842:
	s_lshl_b32 s0, s34, 3
	s_mul_i32 s20, s34, 12
	s_add_u32 s0, s2, s0
	s_addc_u32 s1, s3, 0
	s_add_u32 s0, s0, 0xc4
	s_addc_u32 s1, s1, 0
	;; [unrolled: 2-line block ×3, first 2 shown]
.LBB9_843:                              ; =>This Inner Loop Header: Depth=1
	s_clause 0x1
	s_load_dwordx2 s[44:45], s[20:21], 0x4
	s_load_dword s34, s[20:21], 0xc
	s_load_dwordx2 s[46:47], s[0:1], 0x0
	s_add_u32 s20, s20, 12
	s_addc_u32 s21, s21, 0
	s_add_u32 s0, s0, 8
	s_addc_u32 s1, s1, 0
	s_add_i32 s35, s35, -1
	s_cmp_lg_u32 s35, 0
	s_waitcnt vmcnt(0) lgkmcnt(0)
	v_mul_hi_u32 v3, s45, v1
	v_add_nc_u32_e32 v3, v1, v3
	v_lshrrev_b32_e32 v4, s34, v3
	v_mul_lo_u32 v3, v4, s44
	v_sub_nc_u32_e32 v1, v1, v3
	v_mad_u64_u32 v[2:3], null, v1, s46, v[2:3]
	v_mad_u64_u32 v[0:1], null, v1, s47, v[0:1]
	v_mov_b32_e32 v1, v4
	s_cbranch_scc1 .LBB9_843
.LBB9_844:
	s_mov_b32 s0, 0
.LBB9_845:
	s_andn2_b32 vcc_lo, exec_lo, s0
	s_cbranch_vccnz .LBB9_848
; %bb.846:
	s_waitcnt lgkmcnt(0)
	v_mul_hi_u32 v0, s17, v8
	s_andn2_b32 vcc_lo, exec_lo, s31
	v_add_nc_u32_e32 v0, v8, v0
	v_lshrrev_b32_e32 v1, s18, v0
	v_mul_lo_u32 v0, v1, s16
	v_sub_nc_u32_e32 v0, v8, v0
	v_mul_lo_u32 v2, v0, s12
	v_mul_lo_u32 v0, v0, s13
	s_cbranch_vccnz .LBB9_848
; %bb.847:
	s_waitcnt vmcnt(0)
	v_mul_hi_u32 v3, s6, v1
	v_add_nc_u32_e32 v3, v1, v3
	v_lshrrev_b32_e32 v3, s7, v3
	v_mul_lo_u32 v3, v3, s19
	v_sub_nc_u32_e32 v1, v1, v3
	v_mad_u64_u32 v[2:3], null, v1, s14, v[2:3]
	v_mad_u64_u32 v[0:1], null, v1, s15, v[0:1]
.LBB9_848:
	s_waitcnt lgkmcnt(0)
	v_add_co_u32 v0, s0, s10, v0
	v_add_co_ci_u32_e64 v1, null, s11, 0, s0
	s_and_b32 s0, 0xffff, s30
	s_cmp_lt_i32 s0, 11
	s_cbranch_scc1 .LBB9_855
; %bb.849:
	s_cmp_gt_i32 s0, 25
	s_mov_b32 s6, 0
	s_cbranch_scc0 .LBB9_856
; %bb.850:
	s_cmp_gt_i32 s0, 28
	s_cbranch_scc0 .LBB9_857
; %bb.851:
	s_cmp_gt_i32 s0, 43
	;; [unrolled: 3-line block ×3, first 2 shown]
	s_cbranch_scc0 .LBB9_861
; %bb.853:
	s_cmp_eq_u32 s0, 46
	s_mov_b32 s10, 0
	s_cbranch_scc0 .LBB9_864
; %bb.854:
	global_load_dword v3, v[0:1], off
	s_mov_b32 s1, 0
	s_mov_b32 s7, -1
	s_waitcnt vmcnt(0)
	v_lshlrev_b32_e32 v3, 16, v3
	v_cvt_f64_f32_e32 v[3:4], v3
	s_branch .LBB9_866
.LBB9_855:
	s_mov_b32 s0, -1
	s_mov_b32 s7, 0
	s_mov_b32 s6, 0
	;; [unrolled: 1-line block ×3, first 2 shown]
                                        ; implicit-def: $vgpr3_vgpr4
	s_branch .LBB9_929
.LBB9_856:
	s_mov_b32 s10, -1
	s_mov_b32 s7, 0
	s_mov_b32 s1, s22
                                        ; implicit-def: $vgpr3_vgpr4
	s_branch .LBB9_897
.LBB9_857:
	s_mov_b32 s10, -1
	s_mov_b32 s7, 0
	s_mov_b32 s1, s22
                                        ; implicit-def: $vgpr3_vgpr4
	s_branch .LBB9_876
.LBB9_858:
	s_mov_b32 s10, -1
	s_mov_b32 s7, 0
	s_mov_b32 s1, s22
                                        ; implicit-def: $vgpr3_vgpr4
	s_branch .LBB9_871
.LBB9_859:
	s_andn2_saveexec_b32 s45, s45
	s_cbranch_execz .LBB9_739
.LBB9_860:
	v_add_f32_e64 v3, 0x46000000, |v2|
	s_andn2_b32 s44, s44, exec_lo
	v_and_b32_e32 v3, 0xff, v3
	v_cmp_ne_u32_e32 vcc_lo, 0, v3
	s_and_b32 s46, vcc_lo, exec_lo
	s_or_b32 s44, s44, s46
	s_or_b32 exec_lo, exec_lo, s45
	v_mov_b32_e32 v6, 0
	s_and_saveexec_b32 s45, s44
	s_cbranch_execnz .LBB9_740
	s_branch .LBB9_741
.LBB9_861:
	s_mov_b32 s10, -1
	s_mov_b32 s7, 0
	s_mov_b32 s1, s22
	s_branch .LBB9_865
.LBB9_862:
	s_andn2_saveexec_b32 s45, s45
	s_cbranch_execz .LBB9_752
.LBB9_863:
	v_add_f32_e64 v3, 0x42800000, |v2|
	s_andn2_b32 s44, s44, exec_lo
	v_and_b32_e32 v3, 0xff, v3
	v_cmp_ne_u32_e32 vcc_lo, 0, v3
	s_and_b32 s46, vcc_lo, exec_lo
	s_or_b32 s44, s44, s46
	s_or_b32 exec_lo, exec_lo, s45
	v_mov_b32_e32 v6, 0
	s_and_saveexec_b32 s45, s44
	s_cbranch_execnz .LBB9_753
	s_branch .LBB9_754
.LBB9_864:
	s_mov_b32 s1, -1
	s_mov_b32 s7, 0
.LBB9_865:
                                        ; implicit-def: $vgpr3_vgpr4
.LBB9_866:
	s_and_b32 vcc_lo, exec_lo, s10
	s_cbranch_vccz .LBB9_870
; %bb.867:
	s_cmp_eq_u32 s0, 44
	s_cbranch_scc0 .LBB9_869
; %bb.868:
	global_load_ubyte v5, v[0:1], off
	s_mov_b32 s1, 0
	s_mov_b32 s7, -1
	s_waitcnt vmcnt(0)
	v_lshlrev_b32_e32 v3, 23, v5
	v_cmp_ne_u32_e32 vcc_lo, 0xff, v5
	v_cvt_f64_f32_e32 v[3:4], v3
	v_cndmask_b32_e32 v3, 0x20000000, v3, vcc_lo
	v_cndmask_b32_e32 v4, 0x7ff80000, v4, vcc_lo
	v_cmp_ne_u32_e32 vcc_lo, 0, v5
	v_cndmask_b32_e32 v4, 0x38000000, v4, vcc_lo
	v_cndmask_b32_e32 v3, 0, v3, vcc_lo
	s_branch .LBB9_870
.LBB9_869:
	s_mov_b32 s1, -1
                                        ; implicit-def: $vgpr3_vgpr4
.LBB9_870:
	s_mov_b32 s10, 0
.LBB9_871:
	s_and_b32 vcc_lo, exec_lo, s10
	s_cbranch_vccz .LBB9_875
; %bb.872:
	s_cmp_eq_u32 s0, 29
	s_cbranch_scc0 .LBB9_874
; %bb.873:
	global_load_dwordx2 v[3:4], v[0:1], off
	s_mov_b32 s1, 0
	s_mov_b32 s7, -1
	s_mov_b32 s10, 0
	s_waitcnt vmcnt(0)
	v_cvt_f64_u32_e32 v[4:5], v4
	v_cvt_f64_u32_e32 v[6:7], v3
	v_ldexp_f64 v[4:5], v[4:5], 32
	v_add_f64 v[3:4], v[4:5], v[6:7]
	s_branch .LBB9_876
.LBB9_874:
	s_mov_b32 s1, -1
                                        ; implicit-def: $vgpr3_vgpr4
.LBB9_875:
	s_mov_b32 s10, 0
.LBB9_876:
	s_and_b32 vcc_lo, exec_lo, s10
	s_cbranch_vccz .LBB9_896
; %bb.877:
	s_cmp_lt_i32 s0, 27
	s_cbranch_scc1 .LBB9_880
; %bb.878:
	s_cmp_gt_i32 s0, 27
	s_cbranch_scc0 .LBB9_881
; %bb.879:
	global_load_dword v3, v[0:1], off
	s_mov_b32 s7, 0
	s_waitcnt vmcnt(0)
	v_cvt_f64_u32_e32 v[3:4], v3
	s_branch .LBB9_882
.LBB9_880:
	s_mov_b32 s7, -1
                                        ; implicit-def: $vgpr3_vgpr4
	s_branch .LBB9_885
.LBB9_881:
	s_mov_b32 s7, -1
                                        ; implicit-def: $vgpr3_vgpr4
.LBB9_882:
	s_andn2_b32 vcc_lo, exec_lo, s7
	s_cbranch_vccnz .LBB9_884
; %bb.883:
	global_load_ushort v3, v[0:1], off
	s_waitcnt vmcnt(0)
	v_cvt_f64_u32_e32 v[3:4], v3
.LBB9_884:
	s_mov_b32 s7, 0
.LBB9_885:
	s_andn2_b32 vcc_lo, exec_lo, s7
	s_cbranch_vccnz .LBB9_895
; %bb.886:
	global_load_ubyte v5, v[0:1], off
	s_mov_b32 s7, 0
	s_mov_b32 s10, exec_lo
	s_waitcnt vmcnt(0)
	v_cmpx_lt_i16_e32 0x7f, v5
	s_xor_b32 s10, exec_lo, s10
	s_cbranch_execz .LBB9_890
; %bb.887:
	s_mov_b32 s7, -1
	s_mov_b32 s11, exec_lo
	v_cmpx_eq_u16_e32 0x80, v5
; %bb.888:
	s_xor_b32 s7, exec_lo, -1
; %bb.889:
	s_or_b32 exec_lo, exec_lo, s11
	s_and_b32 s7, s7, exec_lo
.LBB9_890:
	s_or_saveexec_b32 s10, s10
	v_bfrev_b32_e32 v3, 4
	v_mov_b32_e32 v4, 0x7ff80000
	s_xor_b32 exec_lo, exec_lo, s10
; %bb.891:
	v_cmp_ne_u16_e32 vcc_lo, 0, v5
	v_mov_b32_e32 v3, 0
	v_mov_b32_e32 v4, 0
	s_andn2_b32 s7, s7, exec_lo
	s_and_b32 s11, vcc_lo, exec_lo
	s_or_b32 s7, s7, s11
; %bb.892:
	s_or_b32 exec_lo, exec_lo, s10
	s_and_saveexec_b32 s10, s7
	s_cbranch_execz .LBB9_894
; %bb.893:
	v_and_b32_e32 v3, 0xffff, v5
	v_lshlrev_b32_e32 v5, 24, v5
	v_and_b32_e32 v4, 7, v3
	v_bfe_u32 v8, v3, 3, 4
	v_ffbh_u32_e32 v6, v4
	v_cmp_eq_u32_e32 vcc_lo, 0, v8
	v_min_u32_e32 v6, 32, v6
	v_subrev_nc_u32_e32 v7, 28, v6
	v_sub_nc_u32_e32 v6, 29, v6
	v_lshlrev_b32_e32 v3, v7, v3
	v_cndmask_b32_e32 v6, v8, v6, vcc_lo
	v_and_b32_e32 v3, 7, v3
	v_cndmask_b32_e32 v3, v4, v3, vcc_lo
	v_and_b32_e32 v4, 0x80000000, v5
	v_lshl_add_u32 v5, v6, 23, 0x3b800000
	v_lshlrev_b32_e32 v3, 20, v3
	v_or3_b32 v3, v4, v5, v3
	v_cvt_f64_f32_e32 v[3:4], v3
.LBB9_894:
	s_or_b32 exec_lo, exec_lo, s10
.LBB9_895:
	s_mov_b32 s7, -1
.LBB9_896:
	s_mov_b32 s10, 0
.LBB9_897:
	s_and_b32 vcc_lo, exec_lo, s10
	s_cbranch_vccz .LBB9_928
; %bb.898:
	s_cmp_gt_i32 s0, 22
	s_cbranch_scc0 .LBB9_910
; %bb.899:
	s_cmp_lt_i32 s0, 24
	s_cbranch_scc1 .LBB9_911
; %bb.900:
	s_cmp_gt_i32 s0, 24
	s_cbranch_scc0 .LBB9_912
; %bb.901:
	global_load_ubyte v5, v[0:1], off
	s_mov_b32 s7, exec_lo
	s_waitcnt vmcnt(0)
	v_cmpx_lt_i16_e32 0x7f, v5
	s_xor_b32 s7, exec_lo, s7
	s_cbranch_execz .LBB9_905
; %bb.902:
	s_mov_b32 s6, -1
	s_mov_b32 s10, exec_lo
	v_cmpx_eq_u16_e32 0x80, v5
; %bb.903:
	s_xor_b32 s6, exec_lo, -1
; %bb.904:
	s_or_b32 exec_lo, exec_lo, s10
	s_and_b32 s6, s6, exec_lo
.LBB9_905:
	s_or_saveexec_b32 s7, s7
	v_bfrev_b32_e32 v3, 4
	v_mov_b32_e32 v4, 0x7ff80000
	s_xor_b32 exec_lo, exec_lo, s7
; %bb.906:
	v_cmp_ne_u16_e32 vcc_lo, 0, v5
	v_mov_b32_e32 v3, 0
	v_mov_b32_e32 v4, 0
	s_andn2_b32 s6, s6, exec_lo
	s_and_b32 s10, vcc_lo, exec_lo
	s_or_b32 s6, s6, s10
; %bb.907:
	s_or_b32 exec_lo, exec_lo, s7
	s_and_saveexec_b32 s7, s6
	s_cbranch_execz .LBB9_909
; %bb.908:
	v_and_b32_e32 v3, 0xffff, v5
	v_lshlrev_b32_e32 v5, 24, v5
	v_and_b32_e32 v4, 3, v3
	v_bfe_u32 v8, v3, 2, 5
	v_ffbh_u32_e32 v6, v4
	v_cmp_eq_u32_e32 vcc_lo, 0, v8
	v_min_u32_e32 v6, 32, v6
	v_subrev_nc_u32_e32 v7, 29, v6
	v_sub_nc_u32_e32 v6, 30, v6
	v_lshlrev_b32_e32 v3, v7, v3
	v_cndmask_b32_e32 v6, v8, v6, vcc_lo
	v_and_b32_e32 v3, 3, v3
	v_cndmask_b32_e32 v3, v4, v3, vcc_lo
	v_and_b32_e32 v4, 0x80000000, v5
	v_lshl_add_u32 v5, v6, 23, 0x37800000
	v_lshlrev_b32_e32 v3, 21, v3
	v_or3_b32 v3, v4, v5, v3
	v_cvt_f64_f32_e32 v[3:4], v3
.LBB9_909:
	s_or_b32 exec_lo, exec_lo, s7
	s_mov_b32 s6, 0
	s_branch .LBB9_913
.LBB9_910:
	s_mov_b32 s6, -1
                                        ; implicit-def: $vgpr3_vgpr4
	s_branch .LBB9_919
.LBB9_911:
	s_mov_b32 s6, -1
                                        ; implicit-def: $vgpr3_vgpr4
	s_branch .LBB9_916
.LBB9_912:
	s_mov_b32 s6, -1
                                        ; implicit-def: $vgpr3_vgpr4
.LBB9_913:
	s_and_b32 vcc_lo, exec_lo, s6
	s_cbranch_vccz .LBB9_915
; %bb.914:
	global_load_ubyte v3, v[0:1], off
	s_waitcnt vmcnt(0)
	v_lshlrev_b32_e32 v3, 24, v3
	v_and_b32_e32 v4, 0x7f000000, v3
	v_ffbh_u32_e32 v5, v4
	v_add_nc_u32_e32 v7, 0x1000000, v4
	v_cmp_ne_u32_e32 vcc_lo, 0, v4
	v_min_u32_e32 v5, 32, v5
	v_sub_nc_u32_e64 v5, v5, 4 clamp
	v_lshlrev_b32_e32 v6, v5, v4
	v_lshlrev_b32_e32 v5, 23, v5
	v_lshrrev_b32_e32 v6, 4, v6
	v_sub_nc_u32_e32 v5, v6, v5
	v_ashrrev_i32_e32 v6, 8, v7
	v_add_nc_u32_e32 v5, 0x3c000000, v5
	v_and_or_b32 v5, 0x7f800000, v6, v5
	v_cndmask_b32_e32 v4, 0, v5, vcc_lo
	v_and_or_b32 v3, 0x80000000, v3, v4
	v_cvt_f64_f32_e32 v[3:4], v3
.LBB9_915:
	s_mov_b32 s6, 0
.LBB9_916:
	s_andn2_b32 vcc_lo, exec_lo, s6
	s_cbranch_vccnz .LBB9_918
; %bb.917:
	global_load_ubyte v3, v[0:1], off
	s_waitcnt vmcnt(0)
	v_lshlrev_b32_e32 v4, 25, v3
	v_lshlrev_b16 v3, 8, v3
	v_lshrrev_b32_e32 v5, 4, v4
	v_and_or_b32 v6, 0x7f00, v3, 0.5
	v_cmp_gt_u32_e32 vcc_lo, 0x8000000, v4
	v_bfe_i32 v3, v3, 0, 16
	v_or_b32_e32 v5, 0x70000000, v5
	v_add_f32_e32 v6, -0.5, v6
	v_mul_f32_e32 v5, 0x7800000, v5
	v_cndmask_b32_e32 v4, v5, v6, vcc_lo
	v_and_or_b32 v3, 0x80000000, v3, v4
	v_cvt_f64_f32_e32 v[3:4], v3
.LBB9_918:
	s_mov_b32 s6, 0
	s_mov_b32 s7, -1
.LBB9_919:
	s_andn2_b32 vcc_lo, exec_lo, s6
	s_mov_b32 s6, 0
	s_cbranch_vccnz .LBB9_928
; %bb.920:
	s_cmp_gt_i32 s0, 14
	s_cbranch_scc0 .LBB9_923
; %bb.921:
	s_cmp_eq_u32 s0, 15
	s_cbranch_scc0 .LBB9_924
; %bb.922:
	global_load_ushort v3, v[0:1], off
	s_mov_b32 s1, 0
	s_mov_b32 s7, -1
	s_waitcnt vmcnt(0)
	v_lshlrev_b32_e32 v3, 16, v3
	v_cvt_f64_f32_e32 v[3:4], v3
	s_branch .LBB9_926
.LBB9_923:
	s_mov_b32 s6, -1
	s_branch .LBB9_925
.LBB9_924:
	s_mov_b32 s1, -1
.LBB9_925:
                                        ; implicit-def: $vgpr3_vgpr4
.LBB9_926:
	s_and_b32 vcc_lo, exec_lo, s6
	s_mov_b32 s6, 0
	s_cbranch_vccz .LBB9_928
; %bb.927:
	s_cmp_lg_u32 s0, 11
	s_mov_b32 s6, -1
	s_cselect_b32 s0, -1, 0
	s_andn2_b32 s1, s1, exec_lo
	s_and_b32 s0, s0, exec_lo
	s_or_b32 s1, s1, s0
.LBB9_928:
	s_mov_b32 s0, 0
.LBB9_929:
	s_and_b32 s43, s7, exec_lo
	s_andn2_b32 s7, s22, exec_lo
	s_and_b32 s1, s1, exec_lo
	s_and_b32 s44, s0, exec_lo
	;; [unrolled: 1-line block ×3, first 2 shown]
	s_or_b32 s45, s7, s1
.LBB9_930:
	s_or_b32 exec_lo, exec_lo, s33
	s_waitcnt lgkmcnt(0)
	s_andn2_b32 s6, s22, exec_lo
	s_and_b32 s7, s45, exec_lo
	s_and_b32 s43, s43, exec_lo
	;; [unrolled: 1-line block ×4, first 2 shown]
	s_or_b32 s22, s6, s7
.LBB9_931:
	s_or_b32 exec_lo, exec_lo, s42
	s_waitcnt lgkmcnt(0)
	s_andn2_b32 s6, s40, exec_lo
	s_and_b32 s7, s23, exec_lo
	s_and_b32 s42, s43, exec_lo
	s_or_b32 s40, s6, s7
	s_andn2_b32 s6, s39, exec_lo
	s_and_b32 s7, s22, exec_lo
	s_and_b32 s23, s1, exec_lo
	;; [unrolled: 1-line block ×3, first 2 shown]
	s_or_b32 s39, s6, s7
.LBB9_932:
	s_or_b32 exec_lo, exec_lo, s41
	s_andn2_b32 s0, s36, exec_lo
	s_waitcnt lgkmcnt(0)
	s_and_b32 s6, s40, exec_lo
	s_and_b32 s7, s39, exec_lo
	s_or_b32 s36, s0, s6
	s_andn2_b32 s6, s37, exec_lo
	s_and_b32 s0, s42, exec_lo
	s_and_b32 s22, s23, exec_lo
	;; [unrolled: 1-line block ×3, first 2 shown]
	s_or_b32 s37, s6, s7
	s_or_b32 exec_lo, exec_lo, s38
	s_mov_b32 s1, 0
	s_and_saveexec_b32 s6, s37
	s_cbranch_execz .LBB9_278
.LBB9_933:
	s_mov_b32 s1, exec_lo
	s_andn2_b32 s39, s39, exec_lo
	s_trap 2
	s_or_b32 exec_lo, exec_lo, s6
	s_and_saveexec_b32 s6, s39
	s_xor_b32 s6, exec_lo, s6
	s_cbranch_execnz .LBB9_279
.LBB9_934:
	s_or_b32 exec_lo, exec_lo, s6
	s_and_saveexec_b32 s6, s22
	s_cbranch_execz .LBB9_980
.LBB9_935:
	s_sext_i32_i16 s7, s30
	s_cmp_lt_i32 s7, 5
	s_cbranch_scc1 .LBB9_940
; %bb.936:
	s_cmp_lt_i32 s7, 8
	s_cbranch_scc1 .LBB9_941
; %bb.937:
	;; [unrolled: 3-line block ×3, first 2 shown]
	s_cmp_gt_i32 s7, 9
	s_cbranch_scc0 .LBB9_943
; %bb.939:
	global_load_dwordx2 v[3:4], v[0:1], off
	s_mov_b32 s7, 0
	s_branch .LBB9_944
.LBB9_940:
                                        ; implicit-def: $vgpr3_vgpr4
	s_branch .LBB9_961
.LBB9_941:
                                        ; implicit-def: $vgpr3_vgpr4
	s_branch .LBB9_950
.LBB9_942:
	s_mov_b32 s7, -1
                                        ; implicit-def: $vgpr3_vgpr4
	s_branch .LBB9_947
.LBB9_943:
	s_mov_b32 s7, -1
                                        ; implicit-def: $vgpr3_vgpr4
.LBB9_944:
	s_andn2_b32 vcc_lo, exec_lo, s7
	s_cbranch_vccnz .LBB9_946
; %bb.945:
	global_load_dword v3, v[0:1], off
	s_waitcnt vmcnt(0)
	v_cvt_f64_f32_e32 v[3:4], v3
.LBB9_946:
	s_mov_b32 s7, 0
.LBB9_947:
	s_andn2_b32 vcc_lo, exec_lo, s7
	s_cbranch_vccnz .LBB9_949
; %bb.948:
	global_load_dword v3, v[0:1], off
	s_waitcnt vmcnt(0)
	v_cvt_f32_f16_e32 v3, v3
	v_cvt_f64_f32_e32 v[3:4], v3
.LBB9_949:
	s_cbranch_execnz .LBB9_960
.LBB9_950:
	s_sext_i32_i16 s7, s30
	s_cmp_lt_i32 s7, 6
	s_cbranch_scc1 .LBB9_953
; %bb.951:
	s_cmp_gt_i32 s7, 6
	s_cbranch_scc0 .LBB9_954
; %bb.952:
	global_load_dwordx2 v[3:4], v[0:1], off
	s_mov_b32 s7, 0
	s_branch .LBB9_955
.LBB9_953:
	s_mov_b32 s7, -1
                                        ; implicit-def: $vgpr3_vgpr4
	s_branch .LBB9_958
.LBB9_954:
	s_mov_b32 s7, -1
                                        ; implicit-def: $vgpr3_vgpr4
.LBB9_955:
	s_andn2_b32 vcc_lo, exec_lo, s7
	s_cbranch_vccnz .LBB9_957
; %bb.956:
	global_load_dword v3, v[0:1], off
	s_waitcnt vmcnt(0)
	v_cvt_f64_f32_e32 v[3:4], v3
.LBB9_957:
	s_mov_b32 s7, 0
.LBB9_958:
	s_andn2_b32 vcc_lo, exec_lo, s7
	s_cbranch_vccnz .LBB9_960
; %bb.959:
	global_load_ushort v3, v[0:1], off
	s_waitcnt vmcnt(0)
	v_cvt_f32_f16_e32 v3, v3
	v_cvt_f64_f32_e32 v[3:4], v3
.LBB9_960:
	s_cbranch_execnz .LBB9_979
.LBB9_961:
	s_sext_i32_i16 s7, s30
	s_cmp_lt_i32 s7, 2
	s_cbranch_scc1 .LBB9_965
; %bb.962:
	s_cmp_lt_i32 s7, 3
	s_cbranch_scc1 .LBB9_966
; %bb.963:
	s_cmp_gt_i32 s7, 3
	s_cbranch_scc0 .LBB9_967
; %bb.964:
	global_load_dwordx2 v[3:4], v[0:1], off
	s_mov_b32 s7, 0
	s_waitcnt vmcnt(0)
	v_cvt_f64_i32_e32 v[4:5], v4
	v_cvt_f64_u32_e32 v[6:7], v3
	v_ldexp_f64 v[4:5], v[4:5], 32
	v_add_f64 v[3:4], v[4:5], v[6:7]
	s_branch .LBB9_968
.LBB9_965:
                                        ; implicit-def: $vgpr3_vgpr4
	s_branch .LBB9_974
.LBB9_966:
	s_mov_b32 s7, -1
                                        ; implicit-def: $vgpr3_vgpr4
	s_branch .LBB9_971
.LBB9_967:
	s_mov_b32 s7, -1
                                        ; implicit-def: $vgpr3_vgpr4
.LBB9_968:
	s_andn2_b32 vcc_lo, exec_lo, s7
	s_cbranch_vccnz .LBB9_970
; %bb.969:
	global_load_dword v3, v[0:1], off
	s_waitcnt vmcnt(0)
	v_cvt_f64_i32_e32 v[3:4], v3
.LBB9_970:
	s_mov_b32 s7, 0
.LBB9_971:
	s_andn2_b32 vcc_lo, exec_lo, s7
	s_cbranch_vccnz .LBB9_973
; %bb.972:
	global_load_sshort v3, v[0:1], off
	s_waitcnt vmcnt(0)
	v_cvt_f64_i32_e32 v[3:4], v3
.LBB9_973:
	s_cbranch_execnz .LBB9_979
.LBB9_974:
	s_sext_i32_i16 s7, s30
	s_cmp_gt_i32 s7, 0
	s_mov_b32 s7, 0
	s_cbranch_scc0 .LBB9_976
; %bb.975:
	global_load_sbyte v3, v[0:1], off
	s_waitcnt vmcnt(0)
	v_cvt_f64_i32_e32 v[3:4], v3
	s_branch .LBB9_977
.LBB9_976:
	s_mov_b32 s7, -1
                                        ; implicit-def: $vgpr3_vgpr4
.LBB9_977:
	s_andn2_b32 vcc_lo, exec_lo, s7
	s_cbranch_vccnz .LBB9_979
; %bb.978:
	global_load_ubyte v0, v[0:1], off
	s_waitcnt vmcnt(0)
	v_cvt_f64_u32_e32 v[3:4], v0
.LBB9_979:
	s_or_b32 s0, s0, exec_lo
.LBB9_980:
	s_or_b32 exec_lo, exec_lo, s6
	s_mov_b32 s11, 0
	s_mov_b32 s10, 0
                                        ; implicit-def: $sgpr7
                                        ; implicit-def: $vgpr5_vgpr6
                                        ; implicit-def: $vgpr0_vgpr1
	s_and_saveexec_b32 s6, s0
	s_cbranch_execz .LBB9_992
; %bb.981:
	s_waitcnt vmcnt(0)
	v_cmp_ge_f64_e64 s0, 0x40200000, |v[3:4]|
                                        ; implicit-def: $vgpr0_vgpr1
	s_and_saveexec_b32 s7, s0
	s_xor_b32 s0, exec_lo, s7
	s_cbranch_execz .LBB9_983
; %bb.982:
	v_fma_f64 v[0:1], |v[3:4]|, 0.5, -2.0
	s_mov_b32 s10, 0x977da589
	s_mov_b32 s11, 0x3c833362
	;; [unrolled: 1-line block ×4, first 2 shown]
	v_fma_f64 v[5:6], v[0:1], s[12:13], s[10:11]
	s_mov_b32 s13, 0x3c545cb7
	s_mov_b32 s10, 0x721ebbb4
	;; [unrolled: 1-line block ×3, first 2 shown]
	v_fma_f64 v[7:8], v[0:1], v[5:6], s[12:13]
	s_mov_b32 s12, 0x3b39803f
	s_mov_b32 s13, 0xbc7abc9e
	v_add_f64 v[7:8], v[7:8], s[10:11]
	s_mov_b32 s10, 0x93f65eba
	s_mov_b32 s11, 0x3cdee6d8
	v_fma_f64 v[5:6], v[0:1], v[7:8], -v[5:6]
	v_add_f64 v[5:6], v[5:6], s[10:11]
	s_mov_b32 s10, 0xc297fbeb
	s_mov_b32 s11, 0xbd0a5022
	v_fma_f64 v[7:8], v[0:1], v[5:6], -v[7:8]
	v_add_f64 v[7:8], v[7:8], s[10:11]
	s_mov_b32 s10, 0x4b262627
	s_mov_b32 s11, 0x3d359b46
	v_fma_f64 v[5:6], v[0:1], v[7:8], -v[5:6]
	v_add_f64 v[5:6], v[5:6], s[10:11]
	s_mov_b32 s10, 0x62ee1af0
	s_mov_b32 s11, 0xbd61164c
	v_fma_f64 v[7:8], v[0:1], v[5:6], -v[7:8]
	v_add_f64 v[7:8], v[7:8], s[10:11]
	s_mov_b32 s10, 0xe19bd324
	s_mov_b32 s11, 0x3d89fe2f
	v_fma_f64 v[5:6], v[0:1], v[7:8], -v[5:6]
	v_add_f64 v[5:6], v[5:6], s[10:11]
	s_mov_b32 s10, 0x7a946abc
	s_mov_b32 s11, 0xbdb2fc95
	v_fma_f64 v[7:8], v[0:1], v[5:6], -v[7:8]
	v_add_f64 v[7:8], v[7:8], s[10:11]
	s_mov_b32 s10, 0xcc743c10
	s_mov_b32 s11, 0x3dda98be
	v_fma_f64 v[5:6], v[0:1], v[7:8], -v[5:6]
	v_add_f64 v[5:6], v[5:6], s[10:11]
	s_mov_b32 s10, 0x13ae9556
	s_mov_b32 s11, 0xbe01d4fe
	v_fma_f64 v[7:8], v[0:1], v[5:6], -v[7:8]
	v_add_f64 v[7:8], v[7:8], s[10:11]
	s_mov_b32 s10, 0xa454cb34
	s_mov_b32 s11, 0x3e26d903
	v_fma_f64 v[5:6], v[0:1], v[7:8], -v[5:6]
	v_add_f64 v[5:6], v[5:6], s[10:11]
	s_mov_b32 s10, 0x8c0b30ab
	s_mov_b32 s11, 0xbe4beaf6
	v_fma_f64 v[7:8], v[0:1], v[5:6], -v[7:8]
	v_add_f64 v[7:8], v[7:8], s[10:11]
	s_mov_b32 s10, 0x9d4d6435
	s_mov_b32 s11, 0x3e703b76
	v_fma_f64 v[5:6], v[0:1], v[7:8], -v[5:6]
	v_add_f64 v[5:6], v[5:6], s[10:11]
	s_mov_b32 s10, 0x8f227f8d
	s_mov_b32 s11, 0xbe91ec63
	v_fma_f64 v[7:8], v[0:1], v[5:6], -v[7:8]
	v_add_f64 v[7:8], v[7:8], s[10:11]
	s_mov_b32 s10, 0x978cf4ac
	s_mov_b32 s11, 0x3eb2bf24
	v_fma_f64 v[5:6], v[0:1], v[7:8], -v[5:6]
	v_add_f64 v[5:6], v[5:6], s[10:11]
	s_mov_b32 s10, 0xcba56427
	s_mov_b32 s11, 0xbed2866f
	v_fma_f64 v[7:8], v[0:1], v[5:6], -v[7:8]
	v_add_f64 v[7:8], v[7:8], s[10:11]
	s_mov_b32 s10, 0xbe9a2859
	s_mov_b32 s11, 0x3ef13f58
	v_fma_f64 v[5:6], v[0:1], v[7:8], -v[5:6]
	v_add_f64 v[5:6], v[5:6], s[10:11]
	s_mov_b32 s10, 0x59c41d5a
	s_mov_b32 s11, 0xbf0e2b26
	v_fma_f64 v[7:8], v[0:1], v[5:6], -v[7:8]
	v_add_f64 v[7:8], v[7:8], s[10:11]
	s_mov_b32 s10, 0x74107cab
	s_mov_b32 s11, 0x3f28b51b
	v_fma_f64 v[5:6], v[0:1], v[7:8], -v[5:6]
	v_add_f64 v[5:6], v[5:6], s[10:11]
	s_mov_b32 s10, 0x1f15eb52
	s_mov_b32 s11, 0xbf42e2fd
	v_fma_f64 v[7:8], v[0:1], v[5:6], -v[7:8]
	v_add_f64 v[7:8], v[7:8], s[10:11]
	s_mov_b32 s10, 0x8a12100e
	s_mov_b32 s11, 0x3f5adc75
	v_fma_f64 v[5:6], v[0:1], v[7:8], -v[5:6]
	v_add_f64 v[5:6], v[5:6], s[10:11]
	s_mov_b32 s10, 0x201aa849
	s_mov_b32 s11, 0xbf71b65e
	v_fma_f64 v[7:8], v[0:1], v[5:6], -v[7:8]
	v_add_f64 v[7:8], v[7:8], s[10:11]
	s_mov_b32 s10, 0x652b82fe
	s_mov_b32 s11, 0x3ff71547
	v_mul_f64 v[9:10], |v[3:4]|, s[10:11]
	s_mov_b32 s10, 0xf3dde3dd
	s_mov_b32 s11, 0x3f859961
	v_fma_f64 v[5:6], v[0:1], v[7:8], -v[5:6]
	v_rndne_f64_e32 v[9:10], v[9:10]
	v_add_f64 v[5:6], v[5:6], s[10:11]
	s_mov_b32 s10, 0xfefa39ef
	s_mov_b32 s11, 0xbfe62e42
	v_fma_f64 v[3:4], v[9:10], s[10:11], |v[3:4]|
	s_mov_b32 s10, 0xf121b6f0
	s_mov_b32 s11, 0xbf984e9e
	v_fma_f64 v[7:8], v[0:1], v[5:6], -v[7:8]
	v_fma_f64 v[3:4], v[9:10], s[12:13], v[3:4]
	s_mov_b32 s12, 0x6a5dcb37
	s_mov_b32 s13, 0x3e5ade15
	v_add_f64 v[7:8], v[7:8], s[10:11]
	s_mov_b32 s10, 0xfca7ab0c
	s_mov_b32 s11, 0x3e928af3
	v_fma_f64 v[11:12], v[3:4], s[12:13], s[10:11]
	s_mov_b32 s10, 0xcea8a32d
	s_mov_b32 s12, 0x623fde64
	;; [unrolled: 1-line block ×4, first 2 shown]
	v_fma_f64 v[5:6], v[0:1], v[7:8], -v[5:6]
	v_fma_f64 v[11:12], v[3:4], v[11:12], s[12:13]
	s_mov_b32 s12, 0x14761f6e
	s_mov_b32 s13, 0x3f2a01a0
	v_add_f64 v[5:6], v[5:6], s[10:11]
	s_mov_b32 s10, 0x7c89e6b0
	s_mov_b32 s11, 0x3efa0199
	v_fma_f64 v[11:12], v[3:4], v[11:12], s[10:11]
	s_mov_b32 s10, 0x342d06ea
	s_mov_b32 s11, 0xbfb84b70
	v_fma_f64 v[7:8], v[0:1], v[5:6], -v[7:8]
	v_fma_f64 v[11:12], v[3:4], v[11:12], s[12:13]
	s_mov_b32 s12, 0x11122322
	s_mov_b32 s13, 0x3f811111
	v_add_f64 v[7:8], v[7:8], s[10:11]
	s_mov_b32 s10, 0x1852b7b0
	s_mov_b32 s11, 0x3f56c16c
	v_fma_f64 v[11:12], v[3:4], v[11:12], s[10:11]
	s_mov_b32 s10, 0x77ac88c0
	s_mov_b32 s11, 0x3fc5f7ac
	;; [unrolled: 10-line block ×3, first 2 shown]
	v_fma_f64 v[7:8], v[0:1], v[5:6], -v[7:8]
	v_fma_f64 v[11:12], v[3:4], v[11:12], s[12:13]
	v_add_f64 v[7:8], v[7:8], s[10:11]
	s_mov_b32 s10, 11
	s_mov_b32 s11, 0x3fe00000
	v_fma_f64 v[11:12], v[3:4], v[11:12], s[10:11]
	s_mov_b32 s10, 0x9035a22a
	s_mov_b32 s11, 0x3fe5a84e
	v_fma_f64 v[0:1], v[0:1], v[7:8], -v[5:6]
	v_fma_f64 v[7:8], v[3:4], v[11:12], 1.0
	v_add_f64 v[0:1], v[0:1], s[10:11]
	v_fma_f64 v[3:4], v[3:4], v[7:8], 1.0
	v_cvt_i32_f64_e32 v7, v[9:10]
	v_add_f64 v[0:1], v[0:1], -v[5:6]
	v_ldexp_f64 v[3:4], v[3:4], v7
	v_mul_f64 v[0:1], v[0:1], 0.5
	v_mul_f64 v[0:1], v[3:4], v[0:1]
                                        ; implicit-def: $vgpr3_vgpr4
.LBB9_983:
	s_andn2_saveexec_b32 s7, s0
	s_cbranch_execz .LBB9_985
; %bb.984:
	v_and_b32_e32 v1, 0x7fffffff, v4
	v_mov_b32_e32 v0, v3
	s_mov_b32 s10, 0x66119130
	s_mov_b32 s11, 0xbc5646da
	;; [unrolled: 1-line block ×4, first 2 shown]
	v_div_scale_f64 v[5:6], null, v[0:1], v[0:1], 0x40400000
	v_div_scale_f64 v[0:1], vcc_lo, 0x40400000, v[0:1], 0x40400000
	v_cmp_gt_f64_e64 s0, 0x10000000, |v[3:4]|
	v_rcp_f64_e32 v[7:8], v[5:6]
	v_cndmask_b32_e64 v15, 0, 0x100, s0
	v_ldexp_f64 v[15:16], |v[3:4]|, v15
	v_fma_f64 v[9:10], -v[5:6], v[7:8], 1.0
	v_rsq_f64_e32 v[17:18], v[15:16]
	v_fma_f64 v[7:8], v[7:8], v[9:10], v[7:8]
	v_mul_f64 v[19:20], v[15:16], v[17:18]
	v_mul_f64 v[17:18], v[17:18], 0.5
	v_fma_f64 v[9:10], -v[5:6], v[7:8], 1.0
	v_fma_f64 v[21:22], -v[17:18], v[19:20], 0.5
	v_fma_f64 v[7:8], v[7:8], v[9:10], v[7:8]
	v_fma_f64 v[19:20], v[19:20], v[21:22], v[19:20]
	;; [unrolled: 1-line block ×3, first 2 shown]
	v_mul_f64 v[9:10], v[0:1], v[7:8]
	v_fma_f64 v[21:22], -v[19:20], v[19:20], v[15:16]
	v_fma_f64 v[0:1], -v[5:6], v[9:10], v[0:1]
	v_div_fmas_f64 v[0:1], v[0:1], v[7:8], v[9:10]
	v_cmp_nlt_f64_e64 vcc_lo, 0x40900000, |v[3:4]|
	v_div_fixup_f64 v[0:1], v[0:1], |v[3:4]|, 0x40400000
	v_add_f64 v[0:1], v[0:1], -2.0
	v_fma_f64 v[5:6], v[0:1], s[12:13], s[10:11]
	s_mov_b32 s13, 0x3c60adb7
	s_mov_b32 s10, 0x12d98421
	;; [unrolled: 1-line block ×3, first 2 shown]
	v_fma_f64 v[7:8], v[0:1], v[5:6], s[12:13]
	s_mov_b32 s12, 0x6a5dcb37
	s_mov_b32 s13, 0x3e5ade15
	v_add_f64 v[7:8], v[7:8], s[10:11]
	s_mov_b32 s10, 0x76041cd
	s_mov_b32 s11, 0x3c83f3dd
	v_fma_f64 v[5:6], v[0:1], v[7:8], -v[5:6]
	v_add_f64 v[5:6], v[5:6], s[10:11]
	s_mov_b32 s10, 0xabd21fe4
	s_mov_b32 s11, 0xbcb4600b
	v_fma_f64 v[7:8], v[0:1], v[5:6], -v[7:8]
	v_add_f64 v[7:8], v[7:8], s[10:11]
	s_mov_b32 s10, 0xd908de38
	s_mov_b32 s11, 0xbcb8aee7
	v_fma_f64 v[5:6], v[0:1], v[7:8], -v[5:6]
	v_add_f64 v[5:6], v[5:6], s[10:11]
	s_mov_b32 s10, 0xa3eafb1f
	s_mov_b32 s11, 0x3cdfee7d
	v_fma_f64 v[7:8], v[0:1], v[5:6], -v[7:8]
	v_add_f64 v[7:8], v[7:8], s[10:11]
	s_mov_b32 s10, 0x9094e6d7
	s_mov_b32 s11, 0x3cf12a91
	v_fma_f64 v[5:6], v[0:1], v[7:8], -v[5:6]
	v_add_f64 v[5:6], v[5:6], s[10:11]
	s_mov_b32 s10, 0x7e65629a
	s_mov_b32 s11, 0xbd0583fe
	v_fma_f64 v[7:8], v[0:1], v[5:6], -v[7:8]
	v_add_f64 v[7:8], v[7:8], s[10:11]
	s_mov_b32 s10, 0xcf68bb32
	s_mov_b32 s11, 0xbd275d99
	v_fma_f64 v[5:6], v[0:1], v[7:8], -v[5:6]
	v_add_f64 v[5:6], v[5:6], s[10:11]
	s_mov_b32 s10, 0xd5fc545
	s_mov_b32 s11, 0x3d1156ff
	v_fma_f64 v[7:8], v[0:1], v[5:6], -v[7:8]
	v_add_f64 v[7:8], v[7:8], s[10:11]
	s_mov_b32 s10, 0x6b83c073
	s_mov_b32 s11, 0x3d5b1c8c
	v_fma_f64 v[5:6], v[0:1], v[7:8], -v[5:6]
	v_add_f64 v[5:6], v[5:6], s[10:11]
	s_mov_b32 s10, 0xfa268cec
	s_mov_b32 s11, 0x3d694347
	v_fma_f64 v[7:8], v[0:1], v[5:6], -v[7:8]
	v_add_f64 v[7:8], v[7:8], s[10:11]
	s_mov_b32 s10, 0x3178d66
	s_mov_b32 s11, 0xbd7f9043
	v_fma_f64 v[5:6], v[0:1], v[7:8], -v[5:6]
	v_add_f64 v[5:6], v[5:6], s[10:11]
	s_mov_b32 s10, 0x357e7bf2
	s_mov_b32 s11, 0xbdad0fd7
	v_fma_f64 v[7:8], v[0:1], v[5:6], -v[7:8]
	v_add_f64 v[7:8], v[7:8], s[10:11]
	s_mov_b32 s10, 0x8397425
	s_mov_b32 s11, 0xbdc1511d
	v_fma_f64 v[5:6], v[0:1], v[7:8], -v[5:6]
	v_add_f64 v[5:6], v[5:6], s[10:11]
	s_mov_b32 s10, 0xabe8004f
	s_mov_b32 s11, 0x3daa24fe
	v_fma_f64 v[7:8], v[0:1], v[5:6], -v[7:8]
	v_add_f64 v[7:8], v[7:8], s[10:11]
	s_mov_b32 s10, 0xc0f46f75
	s_mov_b32 s11, 0x3e00f9cc
	v_fma_f64 v[5:6], v[0:1], v[7:8], -v[5:6]
	v_add_f64 v[5:6], v[5:6], s[10:11]
	s_mov_b32 s10, 0x652b82fe
	s_mov_b32 s11, 0x3ff71547
	v_mul_f64 v[9:10], |v[3:4]|, s[10:11]
	s_mov_b32 s10, 0xa9225b87
	s_mov_b32 s11, 0x3e2d2c64
	v_fma_f64 v[7:8], v[0:1], v[5:6], -v[7:8]
	v_rndne_f64_e32 v[9:10], v[9:10]
	v_add_f64 v[7:8], v[7:8], s[10:11]
	s_mov_b32 s10, 0xfefa39ef
	s_mov_b32 s11, 0xbfe62e42
	v_fma_f64 v[11:12], v[9:10], s[10:11], |v[3:4]|
	s_mov_b32 s10, 0x3b39803f
	s_mov_b32 s11, 0xbc7abc9e
	v_cndmask_b32_e64 v3, 0, 0xffffff80, s0
	v_cmp_class_f64_e64 s0, v[15:16], 0x260
	v_fma_f64 v[5:6], v[0:1], v[7:8], -v[5:6]
	v_fma_f64 v[11:12], v[9:10], s[10:11], v[11:12]
	s_mov_b32 s10, 0x80d6d56d
	s_mov_b32 s11, 0x3e585692
	v_add_f64 v[5:6], v[5:6], s[10:11]
	s_mov_b32 s10, 0xfca7ab0c
	s_mov_b32 s11, 0x3e928af3
	v_fma_f64 v[13:14], v[11:12], s[12:13], s[10:11]
	s_mov_b32 s10, 0x623fde64
	s_mov_b32 s11, 0x3ec71dee
	v_fma_f64 v[7:8], v[0:1], v[5:6], -v[7:8]
	v_fma_f64 v[13:14], v[11:12], v[13:14], s[10:11]
	s_mov_b32 s10, 0xd9cd616e
	s_mov_b32 s11, 0x3e8b8007
	v_add_f64 v[7:8], v[7:8], s[10:11]
	s_mov_b32 s10, 0x7c89e6b0
	s_mov_b32 s11, 0x3efa0199
	v_fma_f64 v[13:14], v[11:12], v[13:14], s[10:11]
	s_mov_b32 s10, 0x14761f6e
	s_mov_b32 s11, 0x3f2a01a0
	;; [unrolled: 10-line block ×5, first 2 shown]
	v_fma_f64 v[0:1], v[0:1], v[5:6], -v[7:8]
	v_fma_f64 v[5:6], v[21:22], v[17:18], v[19:20]
	v_cvt_i32_f64_e32 v21, v[9:10]
	v_fma_f64 v[13:14], v[11:12], v[13:14], 1.0
	v_add_f64 v[0:1], v[0:1], s[10:11]
	v_fma_f64 v[19:20], -v[5:6], v[5:6], v[15:16]
	v_fma_f64 v[9:10], v[11:12], v[13:14], 1.0
	v_add_f64 v[0:1], v[0:1], -v[7:8]
	v_fma_f64 v[5:6], v[19:20], v[17:18], v[5:6]
	v_ldexp_f64 v[7:8], v[9:10], v21
	v_mul_f64 v[0:1], v[0:1], 0.5
	v_ldexp_f64 v[3:4], v[5:6], v3
	v_cndmask_b32_e32 v6, 0x7ff00000, v8, vcc_lo
	v_cndmask_b32_e32 v5, 0, v7, vcc_lo
	v_mul_f64 v[0:1], v[5:6], v[0:1]
	v_cndmask_b32_e64 v4, v4, v16, s0
	v_cndmask_b32_e64 v3, v3, v15, s0
	v_div_scale_f64 v[5:6], null, v[3:4], v[3:4], v[0:1]
	v_rcp_f64_e32 v[7:8], v[5:6]
	v_fma_f64 v[9:10], -v[5:6], v[7:8], 1.0
	v_fma_f64 v[7:8], v[7:8], v[9:10], v[7:8]
	v_fma_f64 v[9:10], -v[5:6], v[7:8], 1.0
	v_fma_f64 v[7:8], v[7:8], v[9:10], v[7:8]
	v_div_scale_f64 v[9:10], vcc_lo, v[0:1], v[3:4], v[0:1]
	v_mul_f64 v[11:12], v[9:10], v[7:8]
	v_fma_f64 v[5:6], -v[5:6], v[11:12], v[9:10]
	v_div_fmas_f64 v[5:6], v[5:6], v[7:8], v[11:12]
	v_div_fixup_f64 v[0:1], v[5:6], v[3:4], v[0:1]
.LBB9_985:
	s_or_b32 exec_lo, exec_lo, s7
	v_add_co_u32 v5, s0, s8, v2
	v_add_co_ci_u32_e64 v6, null, s9, 0, s0
	s_and_b32 s7, s29, 0xff
	s_cmp_lt_i32 s7, 11
	s_cbranch_scc1 .LBB9_995
; %bb.986:
	s_and_b32 s8, 0xffff, s7
	s_mov_b32 s9, -1
	s_cmp_gt_i32 s8, 25
	s_mov_b32 s0, s36
	s_cbranch_scc0 .LBB9_1023
; %bb.987:
	s_cmp_gt_i32 s8, 28
	s_mov_b32 s0, s36
	s_cbranch_scc0 .LBB9_1007
; %bb.988:
	;; [unrolled: 4-line block ×4, first 2 shown]
	s_cmp_eq_u32 s8, 46
	s_mov_b32 s0, -1
	s_cbranch_scc0 .LBB9_996
; %bb.991:
	v_cvt_f32_f64_e32 v2, v[0:1]
	s_mov_b32 s0, 0
	s_mov_b32 s9, 0
	v_bfe_u32 v3, v2, 16, 1
	v_cmp_o_f32_e32 vcc_lo, v2, v2
	v_add3_u32 v2, v2, v3, 0x7fff
	v_mov_b32_e32 v3, 0x7fc0
	v_cndmask_b32_sdwa v2, v3, v2, vcc_lo dst_sel:DWORD dst_unused:UNUSED_PAD src0_sel:DWORD src1_sel:WORD_1
	global_store_dword v[5:6], v2, off
	s_branch .LBB9_997
.LBB9_992:
	s_or_b32 exec_lo, exec_lo, s6
	s_and_saveexec_b32 s0, s36
	s_cbranch_execnz .LBB9_1065
.LBB9_993:
	s_or_b32 exec_lo, exec_lo, s0
	s_and_saveexec_b32 s0, s11
	s_xor_b32 s0, exec_lo, s0
	s_cbranch_execz .LBB9_1066
.LBB9_994:
	v_cmp_neq_f64_e32 vcc_lo, 0, v[0:1]
	v_cndmask_b32_e64 v2, 0, 1, vcc_lo
	global_store_byte v[5:6], v2, off
	s_or_b32 exec_lo, exec_lo, s0
	s_and_saveexec_b32 s0, s10
	s_xor_b32 s0, exec_lo, s0
	s_cbranch_execz .LBB9_1104
	s_branch .LBB9_1067
.LBB9_995:
	s_mov_b32 s11, 0
	s_mov_b32 s9, -1
	s_mov_b32 s0, s36
	s_branch .LBB9_1064
.LBB9_996:
	s_mov_b32 s9, 0
.LBB9_997:
	s_and_b32 vcc_lo, exec_lo, s9
	s_cbranch_vccz .LBB9_1002
; %bb.998:
	s_cmp_eq_u32 s8, 44
	s_mov_b32 s0, -1
	s_cbranch_scc0 .LBB9_1002
; %bb.999:
	v_cvt_f32_f64_e32 v2, v[0:1]
	v_mov_b32_e32 v3, 0xff
	s_mov_b32 s9, exec_lo
	v_bfe_u32 v4, v2, 23, 8
	v_cmpx_ne_u32_e32 0xff, v4
	s_cbranch_execz .LBB9_1001
; %bb.1000:
	v_and_b32_e32 v3, 0x400000, v2
	v_and_or_b32 v4, 0x3fffff, v2, v4
	v_lshrrev_b32_e32 v2, 23, v2
	v_cmp_ne_u32_e32 vcc_lo, 0, v3
	v_cmp_ne_u32_e64 s0, 0, v4
	s_and_b32 s0, vcc_lo, s0
	v_cndmask_b32_e64 v3, 0, 1, s0
	v_add_nc_u32_e32 v3, v2, v3
.LBB9_1001:
	s_or_b32 exec_lo, exec_lo, s9
	s_mov_b32 s0, 0
	global_store_byte v[5:6], v3, off
.LBB9_1002:
	s_mov_b32 s9, 0
.LBB9_1003:
	s_and_b32 vcc_lo, exec_lo, s9
	s_cbranch_vccz .LBB9_1006
; %bb.1004:
	s_cmp_eq_u32 s8, 29
	s_mov_b32 s0, -1
	s_cbranch_scc0 .LBB9_1006
; %bb.1005:
	v_trunc_f64_e32 v[2:3], v[0:1]
	s_mov_b32 s0, 0
	s_mov_b32 s9, 0
	v_ldexp_f64 v[7:8], v[2:3], 0xffffffe0
	v_floor_f64_e32 v[7:8], v[7:8]
	v_fma_f64 v[2:3], 0xc1f00000, v[7:8], v[2:3]
	v_cvt_u32_f64_e32 v4, v[7:8]
	v_cvt_u32_f64_e32 v3, v[2:3]
	global_store_dwordx2 v[5:6], v[3:4], off
	s_branch .LBB9_1007
.LBB9_1006:
	s_mov_b32 s9, 0
.LBB9_1007:
	s_and_b32 vcc_lo, exec_lo, s9
	s_cbranch_vccz .LBB9_1022
; %bb.1008:
	s_cmp_lt_i32 s8, 27
	s_mov_b32 s9, -1
	s_cbranch_scc1 .LBB9_1014
; %bb.1009:
	s_cmp_gt_i32 s8, 27
	s_cbranch_scc0 .LBB9_1011
; %bb.1010:
	v_cvt_u32_f64_e32 v2, v[0:1]
	s_mov_b32 s9, 0
	global_store_dword v[5:6], v2, off
.LBB9_1011:
	s_andn2_b32 vcc_lo, exec_lo, s9
	s_cbranch_vccnz .LBB9_1013
; %bb.1012:
	v_cvt_u32_f64_e32 v2, v[0:1]
	global_store_short v[5:6], v2, off
.LBB9_1013:
	s_mov_b32 s9, 0
.LBB9_1014:
	s_andn2_b32 vcc_lo, exec_lo, s9
	s_cbranch_vccnz .LBB9_1022
; %bb.1015:
	v_cvt_f32_f64_e32 v2, v[0:1]
	v_mov_b32_e32 v4, 0x80
	s_mov_b32 s9, exec_lo
	v_and_b32_e32 v3, 0x7fffffff, v2
	v_cmpx_gt_u32_e32 0x43800000, v3
	s_cbranch_execz .LBB9_1021
; %bb.1016:
	v_cmp_lt_u32_e32 vcc_lo, 0x3bffffff, v3
	s_mov_b32 s10, 0
                                        ; implicit-def: $vgpr3
	s_and_saveexec_b32 s11, vcc_lo
	s_xor_b32 s11, exec_lo, s11
	s_cbranch_execz .LBB9_1175
; %bb.1017:
	v_bfe_u32 v3, v2, 20, 1
	s_mov_b32 s10, exec_lo
	v_add3_u32 v3, v2, v3, 0x487ffff
	v_lshrrev_b32_e32 v3, 20, v3
	s_andn2_saveexec_b32 s11, s11
	s_cbranch_execnz .LBB9_1176
.LBB9_1018:
	s_or_b32 exec_lo, exec_lo, s11
	v_mov_b32_e32 v4, 0
	s_and_saveexec_b32 s11, s10
.LBB9_1019:
	v_lshrrev_b32_e32 v2, 24, v2
	v_and_or_b32 v4, 0x80, v2, v3
.LBB9_1020:
	s_or_b32 exec_lo, exec_lo, s11
.LBB9_1021:
	s_or_b32 exec_lo, exec_lo, s9
	global_store_byte v[5:6], v4, off
.LBB9_1022:
	s_mov_b32 s9, 0
.LBB9_1023:
	s_and_b32 vcc_lo, exec_lo, s9
	s_mov_b32 s9, 0
	s_cbranch_vccz .LBB9_1063
; %bb.1024:
	s_cmp_gt_i32 s8, 22
	s_mov_b32 s10, -1
	s_cbranch_scc0 .LBB9_1056
; %bb.1025:
	s_cmp_lt_i32 s8, 24
	s_cbranch_scc1 .LBB9_1045
; %bb.1026:
	s_cmp_gt_i32 s8, 24
	s_cbranch_scc0 .LBB9_1034
; %bb.1027:
	v_cvt_f32_f64_e32 v2, v[0:1]
	v_mov_b32_e32 v4, 0x80
	s_mov_b32 s10, exec_lo
	v_and_b32_e32 v3, 0x7fffffff, v2
	v_cmpx_gt_u32_e32 0x47800000, v3
	s_cbranch_execz .LBB9_1033
; %bb.1028:
	v_cmp_lt_u32_e32 vcc_lo, 0x37ffffff, v3
	s_mov_b32 s11, 0
                                        ; implicit-def: $vgpr3
	s_and_saveexec_b32 s12, vcc_lo
	s_xor_b32 s12, exec_lo, s12
	s_cbranch_execz .LBB9_1305
; %bb.1029:
	v_bfe_u32 v3, v2, 21, 1
	s_mov_b32 s11, exec_lo
	v_add3_u32 v3, v2, v3, 0x88fffff
	v_lshrrev_b32_e32 v3, 21, v3
	s_andn2_saveexec_b32 s12, s12
	s_cbranch_execnz .LBB9_1306
.LBB9_1030:
	s_or_b32 exec_lo, exec_lo, s12
	v_mov_b32_e32 v4, 0
	s_and_saveexec_b32 s12, s11
.LBB9_1031:
	v_lshrrev_b32_e32 v2, 24, v2
	v_and_or_b32 v4, 0x80, v2, v3
.LBB9_1032:
	s_or_b32 exec_lo, exec_lo, s12
.LBB9_1033:
	s_or_b32 exec_lo, exec_lo, s10
	s_mov_b32 s10, 0
	global_store_byte v[5:6], v4, off
.LBB9_1034:
	s_and_b32 vcc_lo, exec_lo, s10
	s_cbranch_vccz .LBB9_1044
; %bb.1035:
	v_cvt_f32_f64_e32 v2, v[0:1]
	s_mov_b32 s10, exec_lo
                                        ; implicit-def: $vgpr3
	v_and_b32_e32 v4, 0x7fffffff, v2
	v_cmpx_gt_u32_e32 0x43f00000, v4
	s_xor_b32 s10, exec_lo, s10
	s_cbranch_execz .LBB9_1041
; %bb.1036:
	s_mov_b32 s11, exec_lo
                                        ; implicit-def: $vgpr3
	v_cmpx_lt_u32_e32 0x3c7fffff, v4
	s_xor_b32 s11, exec_lo, s11
; %bb.1037:
	v_bfe_u32 v3, v2, 20, 1
	v_add3_u32 v3, v2, v3, 0x407ffff
	v_and_b32_e32 v4, 0xff00000, v3
	v_lshrrev_b32_e32 v3, 20, v3
	v_cmp_ne_u32_e32 vcc_lo, 0x7f00000, v4
	v_cndmask_b32_e32 v3, 0x7e, v3, vcc_lo
; %bb.1038:
	s_andn2_saveexec_b32 s11, s11
; %bb.1039:
	v_add_f32_e64 v3, 0x46800000, |v2|
; %bb.1040:
	s_or_b32 exec_lo, exec_lo, s11
                                        ; implicit-def: $vgpr4
.LBB9_1041:
	s_andn2_saveexec_b32 s10, s10
; %bb.1042:
	v_mov_b32_e32 v3, 0x7f
	v_cmp_lt_u32_e32 vcc_lo, 0x7f800000, v4
	v_cndmask_b32_e32 v3, 0x7e, v3, vcc_lo
; %bb.1043:
	s_or_b32 exec_lo, exec_lo, s10
	v_lshrrev_b32_e32 v2, 24, v2
	v_and_or_b32 v2, 0x80, v2, v3
	global_store_byte v[5:6], v2, off
.LBB9_1044:
	s_mov_b32 s10, 0
.LBB9_1045:
	s_andn2_b32 vcc_lo, exec_lo, s10
	s_cbranch_vccnz .LBB9_1055
; %bb.1046:
	v_cvt_f32_f64_e32 v2, v[0:1]
	s_mov_b32 s10, exec_lo
                                        ; implicit-def: $vgpr3
	v_and_b32_e32 v4, 0x7fffffff, v2
	v_cmpx_gt_u32_e32 0x47800000, v4
	s_xor_b32 s10, exec_lo, s10
	s_cbranch_execz .LBB9_1052
; %bb.1047:
	s_mov_b32 s11, exec_lo
                                        ; implicit-def: $vgpr3
	v_cmpx_lt_u32_e32 0x387fffff, v4
	s_xor_b32 s11, exec_lo, s11
; %bb.1048:
	v_bfe_u32 v3, v2, 21, 1
	v_add3_u32 v3, v2, v3, 0x80fffff
	v_lshrrev_b32_e32 v3, 21, v3
; %bb.1049:
	s_andn2_saveexec_b32 s11, s11
; %bb.1050:
	v_add_f32_e64 v3, 0x43000000, |v2|
; %bb.1051:
	s_or_b32 exec_lo, exec_lo, s11
                                        ; implicit-def: $vgpr4
.LBB9_1052:
	s_andn2_saveexec_b32 s10, s10
; %bb.1053:
	v_mov_b32_e32 v3, 0x7f
	v_cmp_lt_u32_e32 vcc_lo, 0x7f800000, v4
	v_cndmask_b32_e32 v3, 0x7c, v3, vcc_lo
; %bb.1054:
	s_or_b32 exec_lo, exec_lo, s10
	v_lshrrev_b32_e32 v2, 24, v2
	v_and_or_b32 v2, 0x80, v2, v3
	global_store_byte v[5:6], v2, off
.LBB9_1055:
	s_mov_b32 s10, 0
.LBB9_1056:
	s_andn2_b32 vcc_lo, exec_lo, s10
	s_mov_b32 s11, 0
	s_cbranch_vccnz .LBB9_1064
; %bb.1057:
	s_cmp_gt_i32 s8, 14
	s_mov_b32 s10, -1
	s_cbranch_scc0 .LBB9_1061
; %bb.1058:
	s_cmp_eq_u32 s8, 15
	s_mov_b32 s0, -1
	s_cbranch_scc0 .LBB9_1060
; %bb.1059:
	v_cvt_f32_f64_e32 v2, v[0:1]
	s_mov_b32 s0, 0
	v_bfe_u32 v3, v2, 16, 1
	v_cmp_o_f32_e32 vcc_lo, v2, v2
	v_add3_u32 v2, v2, v3, 0x7fff
	v_mov_b32_e32 v3, 0x7fc0
	v_cndmask_b32_sdwa v2, v3, v2, vcc_lo dst_sel:DWORD dst_unused:UNUSED_PAD src0_sel:DWORD src1_sel:WORD_1
	global_store_short v[5:6], v2, off
.LBB9_1060:
	s_mov_b32 s10, 0
.LBB9_1061:
	s_and_b32 vcc_lo, exec_lo, s10
	s_cbranch_vccz .LBB9_1064
; %bb.1062:
	s_cmp_lg_u32 s8, 11
	s_mov_b32 s11, -1
	s_cselect_b32 s8, -1, 0
	s_andn2_b32 s0, s0, exec_lo
	s_and_b32 s8, s8, exec_lo
	s_or_b32 s0, s0, s8
	s_branch .LBB9_1064
.LBB9_1063:
	s_mov_b32 s11, 0
.LBB9_1064:
	s_andn2_b32 s8, s36, exec_lo
	s_and_b32 s0, s0, exec_lo
	s_and_b32 s10, s9, exec_lo
	;; [unrolled: 1-line block ×3, first 2 shown]
	s_or_b32 s36, s8, s0
	s_or_b32 exec_lo, exec_lo, s6
	s_and_saveexec_b32 s0, s36
	s_cbranch_execz .LBB9_993
.LBB9_1065:
	s_or_b32 s1, s1, exec_lo
	s_andn2_b32 s11, s11, exec_lo
	s_trap 2
	s_or_b32 exec_lo, exec_lo, s0
	s_and_saveexec_b32 s0, s11
	s_xor_b32 s0, exec_lo, s0
	s_cbranch_execnz .LBB9_994
.LBB9_1066:
	s_or_b32 exec_lo, exec_lo, s0
	s_and_saveexec_b32 s0, s10
	s_xor_b32 s0, exec_lo, s0
	s_cbranch_execz .LBB9_1104
.LBB9_1067:
	s_sext_i32_i16 s8, s7
	s_mov_b32 s6, -1
	s_cmp_lt_i32 s8, 5
	s_cbranch_scc1 .LBB9_1088
; %bb.1068:
	s_cmp_lt_i32 s8, 8
	s_cbranch_scc1 .LBB9_1078
; %bb.1069:
	s_cmp_lt_i32 s8, 9
	s_cbranch_scc1 .LBB9_1075
; %bb.1070:
	s_cmp_gt_i32 s8, 9
	s_cbranch_scc0 .LBB9_1072
; %bb.1071:
	v_mov_b32_e32 v2, 0
	s_mov_b32 s6, 0
	s_waitcnt vmcnt(0)
	v_mov_b32_e32 v3, v2
	global_store_dwordx4 v[5:6], v[0:3], off
.LBB9_1072:
	s_andn2_b32 vcc_lo, exec_lo, s6
	s_cbranch_vccnz .LBB9_1074
; %bb.1073:
	v_cvt_f32_f64_e32 v2, v[0:1]
	s_waitcnt vmcnt(0)
	v_mov_b32_e32 v3, 0
	global_store_dwordx2 v[5:6], v[2:3], off
.LBB9_1074:
	s_mov_b32 s6, 0
.LBB9_1075:
	s_andn2_b32 vcc_lo, exec_lo, s6
	s_cbranch_vccnz .LBB9_1077
; %bb.1076:
	v_and_or_b32 v2, 0x1ff, v1, v0
	s_waitcnt vmcnt(0)
	v_lshrrev_b32_e32 v3, 8, v1
	v_bfe_u32 v4, v1, 20, 11
	v_cmp_ne_u32_e32 vcc_lo, 0, v2
	v_sub_nc_u32_e32 v7, 0x3f1, v4
	v_add_nc_u32_e32 v4, 0xfffffc10, v4
	v_cndmask_b32_e64 v2, 0, 1, vcc_lo
	v_and_or_b32 v2, 0xffe, v3, v2
	v_med3_i32 v3, v7, 0, 13
	v_or_b32_e32 v7, 0x1000, v2
	v_lshrrev_b32_e32 v8, v3, v7
	v_lshlrev_b32_e32 v3, v3, v8
	v_cmp_ne_u32_e32 vcc_lo, v3, v7
	v_lshl_or_b32 v7, v4, 12, v2
	v_cndmask_b32_e64 v3, 0, 1, vcc_lo
	v_cmp_gt_i32_e32 vcc_lo, 1, v4
	v_or_b32_e32 v3, v8, v3
	v_cndmask_b32_e32 v3, v7, v3, vcc_lo
	v_and_b32_e32 v7, 7, v3
	v_lshrrev_b32_e32 v3, 2, v3
	v_cmp_lt_i32_e32 vcc_lo, 5, v7
	v_cndmask_b32_e64 v8, 0, 1, vcc_lo
	v_cmp_eq_u32_e32 vcc_lo, 3, v7
	v_cndmask_b32_e64 v7, 0, 1, vcc_lo
	v_cmp_ne_u32_e32 vcc_lo, 0, v2
	v_or_b32_e32 v7, v7, v8
	v_mov_b32_e32 v8, 0x7e00
	v_add_nc_u32_e32 v3, v3, v7
	v_cndmask_b32_e32 v2, 0x7c00, v8, vcc_lo
	v_cmp_gt_i32_e32 vcc_lo, 31, v4
	v_cndmask_b32_e32 v3, 0x7c00, v3, vcc_lo
	v_cmp_eq_u32_e32 vcc_lo, 0x40f, v4
	v_cndmask_b32_e32 v2, v3, v2, vcc_lo
	v_lshrrev_b32_e32 v3, 16, v1
	v_and_or_b32 v2, 0x8000, v3, v2
	v_and_b32_e32 v2, 0xffff, v2
	global_store_dword v[5:6], v2, off
.LBB9_1077:
	s_mov_b32 s6, 0
.LBB9_1078:
	s_andn2_b32 vcc_lo, exec_lo, s6
	s_cbranch_vccnz .LBB9_1087
; %bb.1079:
	s_sext_i32_i16 s8, s7
	s_mov_b32 s6, -1
	s_cmp_lt_i32 s8, 6
	s_cbranch_scc1 .LBB9_1085
; %bb.1080:
	s_cmp_gt_i32 s8, 6
	s_cbranch_scc0 .LBB9_1082
; %bb.1081:
	s_mov_b32 s6, 0
	global_store_dwordx2 v[5:6], v[0:1], off
.LBB9_1082:
	s_andn2_b32 vcc_lo, exec_lo, s6
	s_cbranch_vccnz .LBB9_1084
; %bb.1083:
	v_cvt_f32_f64_e32 v2, v[0:1]
	global_store_dword v[5:6], v2, off
.LBB9_1084:
	s_mov_b32 s6, 0
.LBB9_1085:
	s_andn2_b32 vcc_lo, exec_lo, s6
	s_cbranch_vccnz .LBB9_1087
; %bb.1086:
	v_and_or_b32 v2, 0x1ff, v1, v0
	s_waitcnt vmcnt(0)
	v_lshrrev_b32_e32 v3, 8, v1
	v_bfe_u32 v4, v1, 20, 11
	v_cmp_ne_u32_e32 vcc_lo, 0, v2
	v_sub_nc_u32_e32 v7, 0x3f1, v4
	v_add_nc_u32_e32 v4, 0xfffffc10, v4
	v_cndmask_b32_e64 v2, 0, 1, vcc_lo
	v_and_or_b32 v2, 0xffe, v3, v2
	v_med3_i32 v3, v7, 0, 13
	v_or_b32_e32 v7, 0x1000, v2
	v_lshrrev_b32_e32 v8, v3, v7
	v_lshlrev_b32_e32 v3, v3, v8
	v_cmp_ne_u32_e32 vcc_lo, v3, v7
	v_lshl_or_b32 v7, v4, 12, v2
	v_cndmask_b32_e64 v3, 0, 1, vcc_lo
	v_cmp_gt_i32_e32 vcc_lo, 1, v4
	v_or_b32_e32 v3, v8, v3
	v_cndmask_b32_e32 v3, v7, v3, vcc_lo
	v_and_b32_e32 v7, 7, v3
	v_lshrrev_b32_e32 v3, 2, v3
	v_cmp_lt_i32_e32 vcc_lo, 5, v7
	v_cndmask_b32_e64 v8, 0, 1, vcc_lo
	v_cmp_eq_u32_e32 vcc_lo, 3, v7
	v_cndmask_b32_e64 v7, 0, 1, vcc_lo
	v_cmp_ne_u32_e32 vcc_lo, 0, v2
	v_or_b32_e32 v7, v7, v8
	v_mov_b32_e32 v8, 0x7e00
	v_add_nc_u32_e32 v3, v3, v7
	v_cndmask_b32_e32 v2, 0x7c00, v8, vcc_lo
	v_cmp_gt_i32_e32 vcc_lo, 31, v4
	v_cndmask_b32_e32 v3, 0x7c00, v3, vcc_lo
	v_cmp_eq_u32_e32 vcc_lo, 0x40f, v4
	v_cndmask_b32_e32 v2, v3, v2, vcc_lo
	v_lshrrev_b32_e32 v3, 16, v1
	v_and_or_b32 v2, 0x8000, v3, v2
	global_store_short v[5:6], v2, off
.LBB9_1087:
	s_mov_b32 s6, 0
.LBB9_1088:
	s_andn2_b32 vcc_lo, exec_lo, s6
	s_cbranch_vccnz .LBB9_1104
; %bb.1089:
	s_sext_i32_i16 s8, s7
	s_mov_b32 s6, -1
	s_cmp_lt_i32 s8, 2
	s_cbranch_scc1 .LBB9_1099
; %bb.1090:
	s_cmp_lt_i32 s8, 3
	s_cbranch_scc1 .LBB9_1096
; %bb.1091:
	s_cmp_gt_i32 s8, 3
	s_cbranch_scc0 .LBB9_1093
; %bb.1092:
	s_waitcnt vmcnt(0)
	v_trunc_f64_e32 v[2:3], v[0:1]
	s_mov_b32 s6, 0
	v_ldexp_f64 v[7:8], v[2:3], 0xffffffe0
	v_floor_f64_e32 v[7:8], v[7:8]
	v_fma_f64 v[2:3], 0xc1f00000, v[7:8], v[2:3]
	v_cvt_i32_f64_e32 v4, v[7:8]
	v_cvt_u32_f64_e32 v3, v[2:3]
	global_store_dwordx2 v[5:6], v[3:4], off
.LBB9_1093:
	s_andn2_b32 vcc_lo, exec_lo, s6
	s_cbranch_vccnz .LBB9_1095
; %bb.1094:
	v_cvt_i32_f64_e32 v2, v[0:1]
	global_store_dword v[5:6], v2, off
.LBB9_1095:
	s_mov_b32 s6, 0
.LBB9_1096:
	s_andn2_b32 vcc_lo, exec_lo, s6
	s_cbranch_vccnz .LBB9_1098
; %bb.1097:
	v_cvt_i32_f64_e32 v2, v[0:1]
	global_store_short v[5:6], v2, off
.LBB9_1098:
	s_mov_b32 s6, 0
.LBB9_1099:
	s_andn2_b32 vcc_lo, exec_lo, s6
	s_cbranch_vccnz .LBB9_1104
; %bb.1100:
	s_sext_i32_i16 s6, s7
	s_cmp_gt_i32 s6, 0
	s_mov_b32 s6, -1
	s_cbranch_scc0 .LBB9_1102
; %bb.1101:
	v_cvt_i32_f64_e32 v2, v[0:1]
	s_mov_b32 s6, 0
	global_store_byte v[5:6], v2, off
.LBB9_1102:
	s_andn2_b32 vcc_lo, exec_lo, s6
	s_cbranch_vccnz .LBB9_1104
; %bb.1103:
	v_trunc_f64_e32 v[0:1], v[0:1]
	s_waitcnt vmcnt(0)
	v_ldexp_f64 v[2:3], v[0:1], 0xffffffe0
	v_floor_f64_e32 v[2:3], v[2:3]
	v_fma_f64 v[0:1], 0xc1f00000, v[2:3], v[0:1]
	v_cvt_u32_f64_e32 v0, v[0:1]
	global_store_byte v[5:6], v0, off
.LBB9_1104:
	s_or_b32 exec_lo, exec_lo, s0
	s_and_b32 s12, s1, exec_lo
                                        ; implicit-def: $vgpr5
                                        ; implicit-def: $vgpr8
.LBB9_1105:
	s_or_saveexec_b32 s13, s28
	s_mov_b32 s0, 0
                                        ; implicit-def: $vgpr0_vgpr1
                                        ; implicit-def: $sgpr6
                                        ; implicit-def: $vgpr12_vgpr13
	s_xor_b32 exec_lo, exec_lo, s13
	s_cbranch_execz .LBB9_1774
; %bb.1106:
	s_waitcnt vmcnt(0)
	v_cndmask_b32_e64 v4, 0, 1, s27
	s_andn2_b32 vcc_lo, exec_lo, s27
	s_cbranch_vccnz .LBB9_1112
; %bb.1107:
	s_cmp_lg_u32 s24, 0
	s_mov_b32 s8, 0
	s_cbranch_scc0 .LBB9_1113
; %bb.1108:
	s_min_u32 s10, s25, 15
	s_add_i32 s10, s10, 1
	s_cmp_eq_u32 s25, 2
	s_cbranch_scc1 .LBB9_1114
; %bb.1109:
	v_mov_b32_e32 v0, 0
	v_mov_b32_e32 v2, 0
	;; [unrolled: 1-line block ×3, first 2 shown]
	s_and_b32 s9, s10, 28
	s_add_u32 s0, s2, 0xc4
	s_addc_u32 s1, s3, 0
	s_mov_b32 s11, 0
	s_mov_b64 s[6:7], s[2:3]
.LBB9_1110:                             ; =>This Inner Loop Header: Depth=1
	s_clause 0x1
	s_load_dwordx8 s[16:23], s[6:7], 0x4
	s_load_dwordx4 s[28:31], s[6:7], 0x24
	s_load_dwordx8 s[36:43], s[0:1], 0x0
	s_add_u32 s6, s6, 48
	s_addc_u32 s7, s7, 0
	s_add_i32 s11, s11, 4
	s_add_u32 s0, s0, 32
	s_addc_u32 s1, s1, 0
	s_cmp_lg_u32 s9, s11
	s_waitcnt lgkmcnt(0)
	v_mul_hi_u32 v3, s17, v1
	v_add_nc_u32_e32 v3, v1, v3
	v_lshrrev_b32_e32 v3, s18, v3
	v_mul_hi_u32 v6, s20, v3
	v_mul_lo_u32 v9, v3, s16
	v_add_nc_u32_e32 v6, v3, v6
	v_sub_nc_u32_e32 v1, v1, v9
	v_lshrrev_b32_e32 v6, s21, v6
	v_mul_lo_u32 v9, v1, s36
	v_mul_lo_u32 v11, v1, s37
	v_mul_hi_u32 v7, s23, v6
	v_add_nc_u32_e32 v7, v6, v7
	v_lshrrev_b32_e32 v7, s28, v7
	v_mul_hi_u32 v10, s30, v7
	v_mul_lo_u32 v12, v7, s22
	v_add_nc_u32_e32 v1, v7, v10
	v_mul_lo_u32 v10, v6, s19
	v_sub_nc_u32_e32 v6, v6, v12
	v_lshrrev_b32_e32 v1, s31, v1
	v_mul_lo_u32 v12, v6, s40
	v_mul_lo_u32 v6, v6, s41
	v_sub_nc_u32_e32 v3, v3, v10
	v_mul_lo_u32 v13, v1, s29
	v_mul_lo_u32 v10, v3, s38
	;; [unrolled: 1-line block ×3, first 2 shown]
	v_sub_nc_u32_e32 v7, v7, v13
	v_add3_u32 v2, v9, v2, v10
	v_mul_lo_u32 v13, v7, s42
	v_mul_lo_u32 v7, v7, s43
	v_add3_u32 v0, v11, v0, v3
	v_add3_u32 v2, v12, v2, v13
	v_add3_u32 v0, v6, v0, v7
	s_cbranch_scc1 .LBB9_1110
; %bb.1111:
	s_and_b32 s10, s10, 3
	s_cmp_eq_u32 s10, 0
	s_cbranch_scc0 .LBB9_1115
	s_branch .LBB9_1117
.LBB9_1112:
	s_mov_b32 s8, -1
                                        ; implicit-def: $vgpr2
                                        ; implicit-def: $vgpr0
	s_branch .LBB9_1117
.LBB9_1113:
	v_mov_b32_e32 v2, 0
	v_mov_b32_e32 v0, 0
	s_branch .LBB9_1117
.LBB9_1114:
	v_mov_b32_e32 v2, 0
	v_mov_b32_e32 v0, 0
	;; [unrolled: 1-line block ×3, first 2 shown]
	s_mov_b32 s9, 0
	s_and_b32 s10, s10, 3
	s_cmp_eq_u32 s10, 0
	s_cbranch_scc1 .LBB9_1117
.LBB9_1115:
	s_lshl_b32 s0, s9, 3
	s_mul_i32 s6, s9, 12
	s_add_u32 s0, s2, s0
	s_addc_u32 s1, s3, 0
	s_add_u32 s0, s0, 0xc4
	s_addc_u32 s1, s1, 0
	;; [unrolled: 2-line block ×3, first 2 shown]
	.p2align	6
.LBB9_1116:                             ; =>This Inner Loop Header: Depth=1
	s_clause 0x1
	s_load_dwordx2 s[14:15], s[6:7], 0x4
	s_load_dword s9, s[6:7], 0xc
	s_load_dwordx2 s[16:17], s[0:1], 0x0
	s_add_u32 s6, s6, 12
	s_addc_u32 s7, s7, 0
	s_add_u32 s0, s0, 8
	s_addc_u32 s1, s1, 0
	s_add_i32 s10, s10, -1
	s_cmp_lg_u32 s10, 0
	s_waitcnt lgkmcnt(0)
	v_mul_hi_u32 v3, s15, v1
	v_add_nc_u32_e32 v3, v1, v3
	v_lshrrev_b32_e32 v6, s9, v3
	v_mul_lo_u32 v3, v6, s14
	v_sub_nc_u32_e32 v1, v1, v3
	v_mad_u64_u32 v[2:3], null, v1, s16, v[2:3]
	v_mad_u64_u32 v[0:1], null, v1, s17, v[0:1]
	v_mov_b32_e32 v1, v6
	s_cbranch_scc1 .LBB9_1116
.LBB9_1117:
	s_andn2_b32 vcc_lo, exec_lo, s8
	s_cbranch_vccnz .LBB9_1120
; %bb.1118:
	s_clause 0x1
	s_load_dwordx4 s[8:11], s[2:3], 0x4
	s_load_dwordx2 s[0:1], s[2:3], 0xc4
	s_cmp_lt_u32 s24, 2
	s_waitcnt lgkmcnt(0)
	v_mul_hi_u32 v0, s9, v8
	v_add_nc_u32_e32 v0, v8, v0
	v_lshrrev_b32_e32 v1, s10, v0
	v_mul_lo_u32 v0, v1, s8
	v_sub_nc_u32_e32 v0, v8, v0
	v_mul_lo_u32 v2, v0, s0
	v_mul_lo_u32 v0, v0, s1
	s_cbranch_scc1 .LBB9_1120
; %bb.1119:
	s_clause 0x1
	s_load_dwordx4 s[8:11], s[2:3], 0x10
	s_load_dwordx2 s[0:1], s[2:3], 0xcc
	s_waitcnt lgkmcnt(0)
	v_mul_hi_u32 v3, s9, v1
	v_add_nc_u32_e32 v3, v1, v3
	v_lshrrev_b32_e32 v3, s10, v3
	v_mul_lo_u32 v3, v3, s8
	v_sub_nc_u32_e32 v1, v1, v3
	v_mad_u64_u32 v[2:3], null, v1, s0, v[2:3]
	v_mad_u64_u32 v[0:1], null, v1, s1, v[0:1]
.LBB9_1120:
	v_cmp_ne_u32_e32 vcc_lo, 1, v4
	v_add_nc_u32_e32 v1, 0x80, v8
	s_cbranch_vccnz .LBB9_1126
; %bb.1121:
	s_cmp_lg_u32 s24, 0
	s_mov_b32 s8, 0
	s_cbranch_scc0 .LBB9_1127
; %bb.1122:
	s_min_u32 s10, s25, 15
	s_add_i32 s10, s10, 1
	s_cmp_eq_u32 s25, 2
	s_cbranch_scc1 .LBB9_1128
; %bb.1123:
	v_mov_b32_e32 v9, 0
	v_mov_b32_e32 v6, 0
	v_mov_b32_e32 v3, v1
	s_and_b32 s9, s10, 28
	s_add_u32 s0, s2, 0xc4
	s_addc_u32 s1, s3, 0
	s_mov_b32 s11, 0
	s_mov_b64 s[6:7], s[2:3]
.LBB9_1124:                             ; =>This Inner Loop Header: Depth=1
	s_clause 0x1
	s_load_dwordx8 s[16:23], s[6:7], 0x4
	s_load_dwordx4 s[28:31], s[6:7], 0x24
	s_load_dwordx8 s[36:43], s[0:1], 0x0
	s_add_u32 s6, s6, 48
	s_addc_u32 s7, s7, 0
	s_add_i32 s11, s11, 4
	s_add_u32 s0, s0, 32
	s_addc_u32 s1, s1, 0
	s_cmp_lg_u32 s9, s11
	s_waitcnt lgkmcnt(0)
	v_mul_hi_u32 v7, s17, v3
	v_add_nc_u32_e32 v7, v3, v7
	v_lshrrev_b32_e32 v7, s18, v7
	v_mul_hi_u32 v10, s20, v7
	v_mul_lo_u32 v12, v7, s16
	v_add_nc_u32_e32 v10, v7, v10
	v_sub_nc_u32_e32 v3, v3, v12
	v_lshrrev_b32_e32 v10, s21, v10
	v_mul_lo_u32 v12, v3, s36
	v_mul_lo_u32 v14, v3, s37
	v_mul_hi_u32 v11, s23, v10
	v_add_nc_u32_e32 v11, v10, v11
	v_lshrrev_b32_e32 v11, s28, v11
	v_mul_hi_u32 v13, s30, v11
	v_mul_lo_u32 v15, v11, s22
	v_add_nc_u32_e32 v3, v11, v13
	v_mul_lo_u32 v13, v10, s19
	v_sub_nc_u32_e32 v10, v10, v15
	v_lshrrev_b32_e32 v3, s31, v3
	v_mul_lo_u32 v15, v10, s40
	v_mul_lo_u32 v10, v10, s41
	v_sub_nc_u32_e32 v7, v7, v13
	v_mul_lo_u32 v16, v3, s29
	v_mul_lo_u32 v13, v7, s38
	;; [unrolled: 1-line block ×3, first 2 shown]
	v_sub_nc_u32_e32 v11, v11, v16
	v_add3_u32 v6, v12, v6, v13
	v_mul_lo_u32 v16, v11, s42
	v_mul_lo_u32 v11, v11, s43
	v_add3_u32 v7, v14, v9, v7
	v_add3_u32 v6, v15, v6, v16
	;; [unrolled: 1-line block ×3, first 2 shown]
	s_cbranch_scc1 .LBB9_1124
; %bb.1125:
	s_and_b32 s10, s10, 3
	s_cmp_eq_u32 s10, 0
	s_cbranch_scc0 .LBB9_1129
	s_branch .LBB9_1131
.LBB9_1126:
	s_mov_b32 s8, -1
                                        ; implicit-def: $vgpr6
                                        ; implicit-def: $vgpr9
	s_branch .LBB9_1131
.LBB9_1127:
	v_mov_b32_e32 v6, 0
	v_mov_b32_e32 v9, 0
	s_branch .LBB9_1131
.LBB9_1128:
	v_mov_b32_e32 v6, 0
	v_mov_b32_e32 v9, 0
	;; [unrolled: 1-line block ×3, first 2 shown]
	s_mov_b32 s9, 0
	s_and_b32 s10, s10, 3
	s_cmp_eq_u32 s10, 0
	s_cbranch_scc1 .LBB9_1131
.LBB9_1129:
	s_lshl_b32 s0, s9, 3
	s_mul_i32 s6, s9, 12
	s_add_u32 s0, s2, s0
	s_addc_u32 s1, s3, 0
	s_add_u32 s0, s0, 0xc4
	s_addc_u32 s1, s1, 0
	;; [unrolled: 2-line block ×3, first 2 shown]
	.p2align	6
.LBB9_1130:                             ; =>This Inner Loop Header: Depth=1
	s_clause 0x1
	s_load_dwordx2 s[14:15], s[6:7], 0x4
	s_load_dword s9, s[6:7], 0xc
	s_load_dwordx2 s[16:17], s[0:1], 0x0
	s_add_u32 s6, s6, 12
	s_addc_u32 s7, s7, 0
	s_add_u32 s0, s0, 8
	s_addc_u32 s1, s1, 0
	s_add_i32 s10, s10, -1
	s_cmp_lg_u32 s10, 0
	s_waitcnt lgkmcnt(0)
	v_mul_hi_u32 v7, s15, v3
	v_add_nc_u32_e32 v7, v3, v7
	v_lshrrev_b32_e32 v11, s9, v7
	v_mul_lo_u32 v7, v11, s14
	v_sub_nc_u32_e32 v3, v3, v7
	v_mad_u64_u32 v[6:7], null, v3, s16, v[6:7]
	v_mad_u64_u32 v[9:10], null, v3, s17, v[9:10]
	v_mov_b32_e32 v3, v11
	s_cbranch_scc1 .LBB9_1130
.LBB9_1131:
	s_andn2_b32 vcc_lo, exec_lo, s8
	s_cbranch_vccnz .LBB9_1134
; %bb.1132:
	s_clause 0x1
	s_load_dwordx4 s[8:11], s[2:3], 0x4
	s_load_dwordx2 s[0:1], s[2:3], 0xc4
	s_cmp_lt_u32 s24, 2
	s_waitcnt lgkmcnt(0)
	v_mul_hi_u32 v3, s9, v1
	v_add_nc_u32_e32 v3, v1, v3
	v_lshrrev_b32_e32 v3, s10, v3
	v_mul_lo_u32 v6, v3, s8
	v_sub_nc_u32_e32 v1, v1, v6
	v_mul_lo_u32 v6, v1, s0
	v_mul_lo_u32 v9, v1, s1
	s_cbranch_scc1 .LBB9_1134
; %bb.1133:
	s_clause 0x1
	s_load_dwordx4 s[8:11], s[2:3], 0x10
	s_load_dwordx2 s[0:1], s[2:3], 0xcc
	s_waitcnt lgkmcnt(0)
	v_mul_hi_u32 v1, s9, v3
	v_add_nc_u32_e32 v1, v3, v1
	v_lshrrev_b32_e32 v1, s10, v1
	v_mul_lo_u32 v1, v1, s8
	v_sub_nc_u32_e32 v1, v3, v1
	v_mad_u64_u32 v[6:7], null, v1, s0, v[6:7]
	v_mad_u64_u32 v[9:10], null, v1, s1, v[9:10]
.LBB9_1134:
	v_cmp_ne_u32_e32 vcc_lo, 1, v4
	v_add_nc_u32_e32 v1, 0x100, v8
	s_cbranch_vccnz .LBB9_1140
; %bb.1135:
	s_cmp_lg_u32 s24, 0
	s_mov_b32 s8, 0
	s_cbranch_scc0 .LBB9_1141
; %bb.1136:
	s_min_u32 s10, s25, 15
	s_add_i32 s10, s10, 1
	s_cmp_eq_u32 s25, 2
	s_cbranch_scc1 .LBB9_1142
; %bb.1137:
	v_mov_b32_e32 v7, 0
	v_mov_b32_e32 v10, 0
	;; [unrolled: 1-line block ×3, first 2 shown]
	s_and_b32 s9, s10, 28
	s_add_u32 s0, s2, 0xc4
	s_addc_u32 s1, s3, 0
	s_mov_b32 s11, 0
	s_mov_b64 s[6:7], s[2:3]
.LBB9_1138:                             ; =>This Inner Loop Header: Depth=1
	s_clause 0x1
	s_load_dwordx8 s[16:23], s[6:7], 0x4
	s_load_dwordx4 s[28:31], s[6:7], 0x24
	s_load_dwordx8 s[36:43], s[0:1], 0x0
	s_add_u32 s6, s6, 48
	s_addc_u32 s7, s7, 0
	s_add_i32 s11, s11, 4
	s_add_u32 s0, s0, 32
	s_addc_u32 s1, s1, 0
	s_cmp_lg_u32 s9, s11
	s_waitcnt lgkmcnt(0)
	v_mul_hi_u32 v8, s17, v3
	v_add_nc_u32_e32 v8, v3, v8
	v_lshrrev_b32_e32 v8, s18, v8
	v_mul_hi_u32 v11, s20, v8
	v_mul_lo_u32 v13, v8, s16
	v_add_nc_u32_e32 v11, v8, v11
	v_sub_nc_u32_e32 v3, v3, v13
	v_lshrrev_b32_e32 v11, s21, v11
	v_mul_lo_u32 v13, v3, s36
	v_mul_lo_u32 v15, v3, s37
	v_mul_hi_u32 v12, s23, v11
	v_add_nc_u32_e32 v12, v11, v12
	v_lshrrev_b32_e32 v12, s28, v12
	v_mul_hi_u32 v14, s30, v12
	v_mul_lo_u32 v16, v12, s22
	v_add_nc_u32_e32 v3, v12, v14
	v_mul_lo_u32 v14, v11, s19
	v_sub_nc_u32_e32 v11, v11, v16
	v_lshrrev_b32_e32 v3, s31, v3
	v_mul_lo_u32 v16, v11, s40
	v_mul_lo_u32 v11, v11, s41
	v_sub_nc_u32_e32 v8, v8, v14
	v_mul_lo_u32 v17, v3, s29
	v_mul_lo_u32 v14, v8, s38
	;; [unrolled: 1-line block ×3, first 2 shown]
	v_sub_nc_u32_e32 v12, v12, v17
	v_add3_u32 v10, v13, v10, v14
	v_mul_lo_u32 v17, v12, s42
	v_mul_lo_u32 v12, v12, s43
	v_add3_u32 v7, v15, v7, v8
	v_add3_u32 v10, v16, v10, v17
	;; [unrolled: 1-line block ×3, first 2 shown]
	s_cbranch_scc1 .LBB9_1138
; %bb.1139:
	s_and_b32 s10, s10, 3
	s_cmp_eq_u32 s10, 0
	s_cbranch_scc0 .LBB9_1143
	s_branch .LBB9_1145
.LBB9_1140:
	s_mov_b32 s8, -1
                                        ; implicit-def: $vgpr10
                                        ; implicit-def: $vgpr7
	s_branch .LBB9_1145
.LBB9_1141:
	v_mov_b32_e32 v10, 0
	v_mov_b32_e32 v7, 0
	s_branch .LBB9_1145
.LBB9_1142:
	v_mov_b32_e32 v10, 0
	v_mov_b32_e32 v7, 0
	;; [unrolled: 1-line block ×3, first 2 shown]
	s_mov_b32 s9, 0
	s_and_b32 s10, s10, 3
	s_cmp_eq_u32 s10, 0
	s_cbranch_scc1 .LBB9_1145
.LBB9_1143:
	s_lshl_b32 s0, s9, 3
	s_mul_i32 s6, s9, 12
	s_add_u32 s0, s2, s0
	s_addc_u32 s1, s3, 0
	s_add_u32 s0, s0, 0xc4
	s_addc_u32 s1, s1, 0
	s_add_u32 s6, s2, s6
	s_addc_u32 s7, s3, 0
	.p2align	6
.LBB9_1144:                             ; =>This Inner Loop Header: Depth=1
	s_clause 0x1
	s_load_dwordx2 s[14:15], s[6:7], 0x4
	s_load_dword s9, s[6:7], 0xc
	s_load_dwordx2 s[16:17], s[0:1], 0x0
	s_add_u32 s6, s6, 12
	s_addc_u32 s7, s7, 0
	s_add_u32 s0, s0, 8
	s_addc_u32 s1, s1, 0
	s_add_i32 s10, s10, -1
	s_cmp_lg_u32 s10, 0
	s_waitcnt lgkmcnt(0)
	v_mul_hi_u32 v8, s15, v3
	v_add_nc_u32_e32 v8, v3, v8
	v_lshrrev_b32_e32 v12, s9, v8
	v_mul_lo_u32 v8, v12, s14
	v_sub_nc_u32_e32 v3, v3, v8
	v_mad_u64_u32 v[10:11], null, v3, s16, v[10:11]
	v_mad_u64_u32 v[7:8], null, v3, s17, v[7:8]
	v_mov_b32_e32 v3, v12
	s_cbranch_scc1 .LBB9_1144
.LBB9_1145:
	s_andn2_b32 vcc_lo, exec_lo, s8
	s_cbranch_vccnz .LBB9_1148
; %bb.1146:
	s_clause 0x1
	s_load_dwordx4 s[8:11], s[2:3], 0x4
	s_load_dwordx2 s[0:1], s[2:3], 0xc4
	s_cmp_lt_u32 s24, 2
	s_waitcnt lgkmcnt(0)
	v_mul_hi_u32 v3, s9, v1
	v_add_nc_u32_e32 v3, v1, v3
	v_lshrrev_b32_e32 v3, s10, v3
	v_mul_lo_u32 v7, v3, s8
	v_sub_nc_u32_e32 v1, v1, v7
	v_mul_lo_u32 v10, v1, s0
	v_mul_lo_u32 v7, v1, s1
	s_cbranch_scc1 .LBB9_1148
; %bb.1147:
	s_clause 0x1
	s_load_dwordx4 s[8:11], s[2:3], 0x10
	s_load_dwordx2 s[0:1], s[2:3], 0xcc
	s_waitcnt lgkmcnt(0)
	v_mul_hi_u32 v1, s9, v3
	v_add_nc_u32_e32 v1, v3, v1
	v_lshrrev_b32_e32 v1, s10, v1
	v_mul_lo_u32 v1, v1, s8
	v_sub_nc_u32_e32 v1, v3, v1
	v_mad_u64_u32 v[10:11], null, v1, s0, v[10:11]
	v_mad_u64_u32 v[7:8], null, v1, s1, v[7:8]
.LBB9_1148:
	v_cmp_ne_u32_e32 vcc_lo, 1, v4
	s_cbranch_vccnz .LBB9_1154
; %bb.1149:
	s_cmp_lg_u32 s24, 0
	s_mov_b32 s8, 0
	s_cbranch_scc0 .LBB9_1155
; %bb.1150:
	s_min_u32 s10, s25, 15
	s_add_i32 s10, s10, 1
	s_cmp_eq_u32 s25, 2
	s_cbranch_scc1 .LBB9_1156
; %bb.1151:
	v_mov_b32_e32 v3, 0
	v_mov_b32_e32 v14, 0
	;; [unrolled: 1-line block ×3, first 2 shown]
	s_and_b32 s9, s10, 28
	s_add_u32 s0, s2, 0xc4
	s_addc_u32 s1, s3, 0
	s_mov_b32 s11, 0
	s_mov_b64 s[6:7], s[2:3]
.LBB9_1152:                             ; =>This Inner Loop Header: Depth=1
	s_clause 0x1
	s_load_dwordx8 s[16:23], s[6:7], 0x4
	s_load_dwordx4 s[28:31], s[6:7], 0x24
	s_load_dwordx8 s[36:43], s[0:1], 0x0
	s_add_u32 s6, s6, 48
	s_addc_u32 s7, s7, 0
	s_add_i32 s11, s11, 4
	s_add_u32 s0, s0, 32
	s_addc_u32 s1, s1, 0
	s_cmp_lg_u32 s9, s11
	s_waitcnt lgkmcnt(0)
	v_mul_hi_u32 v4, s17, v1
	v_add_nc_u32_e32 v4, v1, v4
	v_lshrrev_b32_e32 v4, s18, v4
	v_mul_hi_u32 v8, s20, v4
	v_mul_lo_u32 v12, v4, s16
	v_add_nc_u32_e32 v8, v4, v8
	v_sub_nc_u32_e32 v1, v1, v12
	v_lshrrev_b32_e32 v8, s21, v8
	v_mul_lo_u32 v12, v1, s36
	v_mul_lo_u32 v15, v1, s37
	v_mul_hi_u32 v11, s23, v8
	v_add_nc_u32_e32 v11, v8, v11
	v_lshrrev_b32_e32 v11, s28, v11
	v_mul_hi_u32 v13, s30, v11
	v_mul_lo_u32 v16, v11, s22
	v_add_nc_u32_e32 v1, v11, v13
	v_mul_lo_u32 v13, v8, s19
	v_sub_nc_u32_e32 v8, v8, v16
	v_lshrrev_b32_e32 v1, s31, v1
	v_mul_lo_u32 v16, v8, s40
	v_mul_lo_u32 v8, v8, s41
	v_sub_nc_u32_e32 v4, v4, v13
	v_mul_lo_u32 v17, v1, s29
	v_mul_lo_u32 v13, v4, s38
	;; [unrolled: 1-line block ×3, first 2 shown]
	v_sub_nc_u32_e32 v11, v11, v17
	v_add3_u32 v12, v12, v14, v13
	v_mul_lo_u32 v17, v11, s42
	v_mul_lo_u32 v11, v11, s43
	v_add3_u32 v3, v15, v3, v4
	v_add3_u32 v14, v16, v12, v17
	;; [unrolled: 1-line block ×3, first 2 shown]
	s_cbranch_scc1 .LBB9_1152
; %bb.1153:
	s_and_b32 s10, s10, 3
	s_cmp_eq_u32 s10, 0
	s_cbranch_scc0 .LBB9_1157
	s_branch .LBB9_1159
.LBB9_1154:
	s_mov_b32 s8, -1
                                        ; implicit-def: $vgpr14
                                        ; implicit-def: $vgpr3
	s_branch .LBB9_1159
.LBB9_1155:
	v_mov_b32_e32 v14, 0
	v_mov_b32_e32 v3, 0
	s_branch .LBB9_1159
.LBB9_1156:
	v_mov_b32_e32 v14, 0
	v_mov_b32_e32 v3, 0
	;; [unrolled: 1-line block ×3, first 2 shown]
	s_mov_b32 s9, 0
	s_and_b32 s10, s10, 3
	s_cmp_eq_u32 s10, 0
	s_cbranch_scc1 .LBB9_1159
.LBB9_1157:
	s_lshl_b32 s0, s9, 3
	s_mul_i32 s6, s9, 12
	s_add_u32 s0, s2, s0
	s_addc_u32 s1, s3, 0
	s_add_u32 s0, s0, 0xc4
	s_addc_u32 s1, s1, 0
	s_add_u32 s6, s2, s6
	s_addc_u32 s7, s3, 0
	.p2align	6
.LBB9_1158:                             ; =>This Inner Loop Header: Depth=1
	s_clause 0x1
	s_load_dwordx2 s[14:15], s[6:7], 0x4
	s_load_dword s9, s[6:7], 0xc
	s_load_dwordx2 s[16:17], s[0:1], 0x0
	s_add_u32 s6, s6, 12
	s_addc_u32 s7, s7, 0
	s_add_u32 s0, s0, 8
	s_addc_u32 s1, s1, 0
	s_add_i32 s10, s10, -1
	s_cmp_lg_u32 s10, 0
	s_waitcnt lgkmcnt(0)
	v_mul_hi_u32 v4, s15, v1
	v_add_nc_u32_e32 v4, v1, v4
	v_lshrrev_b32_e32 v8, s9, v4
	v_mul_lo_u32 v4, v8, s14
	v_sub_nc_u32_e32 v1, v1, v4
	v_mad_u64_u32 v[14:15], null, v1, s16, v[14:15]
	v_mad_u64_u32 v[3:4], null, v1, s17, v[3:4]
	v_mov_b32_e32 v1, v8
	s_cbranch_scc1 .LBB9_1158
.LBB9_1159:
	s_andn2_b32 vcc_lo, exec_lo, s8
	s_cbranch_vccnz .LBB9_1162
; %bb.1160:
	s_clause 0x1
	s_load_dwordx4 s[8:11], s[2:3], 0x4
	s_load_dwordx2 s[0:1], s[2:3], 0xc4
	s_cmp_lt_u32 s24, 2
	s_waitcnt lgkmcnt(0)
	v_mul_hi_u32 v1, s9, v5
	v_add_nc_u32_e32 v1, v5, v1
	v_lshrrev_b32_e32 v1, s10, v1
	v_mul_lo_u32 v3, v1, s8
	v_sub_nc_u32_e32 v3, v5, v3
	v_mul_lo_u32 v14, v3, s0
	v_mul_lo_u32 v3, v3, s1
	s_cbranch_scc1 .LBB9_1162
; %bb.1161:
	s_clause 0x1
	s_load_dwordx4 s[8:11], s[2:3], 0x10
	s_load_dwordx2 s[0:1], s[2:3], 0xcc
	s_waitcnt lgkmcnt(0)
	v_mul_hi_u32 v4, s9, v1
	v_add_nc_u32_e32 v4, v1, v4
	v_lshrrev_b32_e32 v4, s10, v4
	v_mul_lo_u32 v4, v4, s8
	v_sub_nc_u32_e32 v1, v1, v4
	v_mad_u64_u32 v[14:15], null, v1, s0, v[14:15]
	v_mad_u64_u32 v[3:4], null, v1, s1, v[3:4]
.LBB9_1162:
	s_clause 0x1
	s_load_dwordx4 s[8:11], s[2:3], 0x148
	s_load_dword s2, s[4:5], 0x160
	s_waitcnt lgkmcnt(0)
	v_add_co_u32 v0, s0, s10, v0
	v_add_co_ci_u32_e64 v1, null, s11, 0, s0
	s_bfe_u32 s0, s2, 0x80010
	s_cmp_lt_i32 s0, 11
	s_cbranch_scc1 .LBB9_1169
; %bb.1163:
	s_and_b32 s1, 0xffff, s0
	s_mov_b32 s4, 0
	s_cmp_gt_i32 s1, 25
	s_cbranch_scc0 .LBB9_1171
; %bb.1164:
	s_cmp_gt_i32 s1, 28
	s_cbranch_scc0 .LBB9_1172
; %bb.1165:
	;; [unrolled: 3-line block ×4, first 2 shown]
	s_cmp_eq_u32 s1, 46
	s_mov_b32 s6, 0
	s_cbranch_scc0 .LBB9_1177
; %bb.1168:
	global_load_dword v4, v[0:1], off
	s_mov_b32 s3, 0
	s_mov_b32 s5, -1
	s_waitcnt vmcnt(0)
	v_lshlrev_b32_e32 v4, 16, v4
	v_cvt_f64_f32_e32 v[4:5], v4
	s_branch .LBB9_1179
.LBB9_1169:
	s_mov_b32 s5, 0
	s_mov_b32 s1, s12
                                        ; implicit-def: $vgpr4_vgpr5
	s_cbranch_execnz .LBB9_1242
.LBB9_1170:
	s_andn2_b32 vcc_lo, exec_lo, s5
	s_cbranch_vccz .LBB9_1287
	s_branch .LBB9_1772
.LBB9_1171:
	s_mov_b32 s5, 0
	s_mov_b32 s3, 0
                                        ; implicit-def: $vgpr4_vgpr5
	s_cbranch_execnz .LBB9_1209
	s_branch .LBB9_1238
.LBB9_1172:
	s_mov_b32 s6, -1
	s_mov_b32 s5, 0
	s_mov_b32 s3, 0
                                        ; implicit-def: $vgpr4_vgpr5
	s_branch .LBB9_1188
.LBB9_1173:
	s_mov_b32 s5, 0
	s_mov_b32 s3, 0
                                        ; implicit-def: $vgpr4_vgpr5
	s_cbranch_execnz .LBB9_1184
	s_branch .LBB9_1187
.LBB9_1174:
	s_mov_b32 s6, -1
	s_mov_b32 s5, 0
	s_mov_b32 s3, 0
	s_branch .LBB9_1178
.LBB9_1175:
	s_andn2_saveexec_b32 s11, s11
	s_cbranch_execz .LBB9_1018
.LBB9_1176:
	v_add_f32_e64 v3, 0x46000000, |v2|
	s_andn2_b32 s10, s10, exec_lo
	v_and_b32_e32 v3, 0xff, v3
	v_cmp_ne_u32_e32 vcc_lo, 0, v3
	s_and_b32 s12, vcc_lo, exec_lo
	s_or_b32 s10, s10, s12
	s_or_b32 exec_lo, exec_lo, s11
	v_mov_b32_e32 v4, 0
	s_and_saveexec_b32 s11, s10
	s_cbranch_execnz .LBB9_1019
	s_branch .LBB9_1020
.LBB9_1177:
	s_mov_b32 s3, -1
	s_mov_b32 s5, 0
.LBB9_1178:
                                        ; implicit-def: $vgpr4_vgpr5
.LBB9_1179:
	s_and_b32 vcc_lo, exec_lo, s6
	s_cbranch_vccz .LBB9_1182
; %bb.1180:
	s_cmp_eq_u32 s1, 44
	s_cbranch_scc0 .LBB9_1183
; %bb.1181:
	global_load_ubyte v8, v[0:1], off
	s_mov_b32 s3, 0
	s_mov_b32 s5, -1
	s_waitcnt vmcnt(0)
	v_lshlrev_b32_e32 v4, 23, v8
	v_cmp_ne_u32_e32 vcc_lo, 0xff, v8
	v_cvt_f64_f32_e32 v[4:5], v4
	v_cndmask_b32_e32 v4, 0x20000000, v4, vcc_lo
	v_cndmask_b32_e32 v5, 0x7ff80000, v5, vcc_lo
	v_cmp_ne_u32_e32 vcc_lo, 0, v8
	v_cndmask_b32_e32 v5, 0x38000000, v5, vcc_lo
	v_cndmask_b32_e32 v4, 0, v4, vcc_lo
.LBB9_1182:
	s_branch .LBB9_1187
.LBB9_1183:
	s_mov_b32 s3, -1
                                        ; implicit-def: $vgpr4_vgpr5
	s_branch .LBB9_1187
.LBB9_1184:
	s_cmp_eq_u32 s1, 29
	s_cbranch_scc0 .LBB9_1186
; %bb.1185:
	global_load_dwordx2 v[4:5], v[0:1], off
	s_mov_b32 s3, 0
	s_mov_b32 s5, -1
	s_mov_b32 s6, 0
	s_waitcnt vmcnt(0)
	v_cvt_f64_u32_e32 v[11:12], v5
	v_cvt_f64_u32_e32 v[4:5], v4
	v_ldexp_f64 v[11:12], v[11:12], 32
	v_add_f64 v[4:5], v[11:12], v[4:5]
	s_branch .LBB9_1188
.LBB9_1186:
	s_mov_b32 s3, -1
                                        ; implicit-def: $vgpr4_vgpr5
.LBB9_1187:
	s_mov_b32 s6, 0
.LBB9_1188:
	s_and_b32 vcc_lo, exec_lo, s6
	s_cbranch_vccz .LBB9_1208
; %bb.1189:
	s_cmp_lt_i32 s1, 27
	s_cbranch_scc1 .LBB9_1192
; %bb.1190:
	s_cmp_gt_i32 s1, 27
	s_cbranch_scc0 .LBB9_1193
; %bb.1191:
	global_load_dword v4, v[0:1], off
	s_mov_b32 s5, 0
	s_waitcnt vmcnt(0)
	v_cvt_f64_u32_e32 v[4:5], v4
	s_branch .LBB9_1194
.LBB9_1192:
	s_mov_b32 s5, -1
                                        ; implicit-def: $vgpr4_vgpr5
	s_branch .LBB9_1197
.LBB9_1193:
	s_mov_b32 s5, -1
                                        ; implicit-def: $vgpr4_vgpr5
.LBB9_1194:
	s_andn2_b32 vcc_lo, exec_lo, s5
	s_cbranch_vccnz .LBB9_1196
; %bb.1195:
	global_load_ushort v4, v[0:1], off
	s_waitcnt vmcnt(0)
	v_cvt_f64_u32_e32 v[4:5], v4
.LBB9_1196:
	s_mov_b32 s5, 0
.LBB9_1197:
	s_andn2_b32 vcc_lo, exec_lo, s5
	s_cbranch_vccnz .LBB9_1207
; %bb.1198:
	global_load_ubyte v8, v[0:1], off
	s_mov_b32 s5, 0
	s_mov_b32 s6, exec_lo
	s_waitcnt vmcnt(0)
	v_cmpx_lt_i16_e32 0x7f, v8
	s_xor_b32 s6, exec_lo, s6
	s_cbranch_execz .LBB9_1202
; %bb.1199:
	s_mov_b32 s5, -1
	s_mov_b32 s7, exec_lo
	v_cmpx_eq_u16_e32 0x80, v8
; %bb.1200:
	s_xor_b32 s5, exec_lo, -1
; %bb.1201:
	s_or_b32 exec_lo, exec_lo, s7
	s_and_b32 s5, s5, exec_lo
.LBB9_1202:
	s_or_saveexec_b32 s6, s6
	v_bfrev_b32_e32 v4, 4
	v_mov_b32_e32 v5, 0x7ff80000
	s_xor_b32 exec_lo, exec_lo, s6
; %bb.1203:
	v_cmp_ne_u16_e32 vcc_lo, 0, v8
	v_mov_b32_e32 v4, 0
	v_mov_b32_e32 v5, 0
	s_andn2_b32 s5, s5, exec_lo
	s_and_b32 s7, vcc_lo, exec_lo
	s_or_b32 s5, s5, s7
; %bb.1204:
	s_or_b32 exec_lo, exec_lo, s6
	s_and_saveexec_b32 s6, s5
	s_cbranch_execz .LBB9_1206
; %bb.1205:
	v_and_b32_e32 v4, 0xffff, v8
	v_lshlrev_b32_e32 v8, 24, v8
	v_and_b32_e32 v5, 7, v4
	v_bfe_u32 v13, v4, 3, 4
	v_ffbh_u32_e32 v11, v5
	v_cmp_eq_u32_e32 vcc_lo, 0, v13
	v_min_u32_e32 v11, 32, v11
	v_subrev_nc_u32_e32 v12, 28, v11
	v_sub_nc_u32_e32 v11, 29, v11
	v_lshlrev_b32_e32 v4, v12, v4
	v_cndmask_b32_e32 v11, v13, v11, vcc_lo
	v_and_b32_e32 v4, 7, v4
	v_cndmask_b32_e32 v4, v5, v4, vcc_lo
	v_and_b32_e32 v5, 0x80000000, v8
	v_lshl_add_u32 v8, v11, 23, 0x3b800000
	v_lshlrev_b32_e32 v4, 20, v4
	v_or3_b32 v4, v5, v8, v4
	v_cvt_f64_f32_e32 v[4:5], v4
.LBB9_1206:
	s_or_b32 exec_lo, exec_lo, s6
.LBB9_1207:
	s_mov_b32 s5, -1
.LBB9_1208:
	s_branch .LBB9_1238
.LBB9_1209:
	s_cmp_gt_i32 s1, 22
	s_cbranch_scc0 .LBB9_1221
; %bb.1210:
	s_cmp_lt_i32 s1, 24
	s_cbranch_scc1 .LBB9_1222
; %bb.1211:
	s_cmp_gt_i32 s1, 24
	s_cbranch_scc0 .LBB9_1223
; %bb.1212:
	global_load_ubyte v8, v[0:1], off
	s_mov_b32 s5, exec_lo
	s_waitcnt vmcnt(0)
	v_cmpx_lt_i16_e32 0x7f, v8
	s_xor_b32 s5, exec_lo, s5
	s_cbranch_execz .LBB9_1216
; %bb.1213:
	s_mov_b32 s4, -1
	s_mov_b32 s6, exec_lo
	v_cmpx_eq_u16_e32 0x80, v8
; %bb.1214:
	s_xor_b32 s4, exec_lo, -1
; %bb.1215:
	s_or_b32 exec_lo, exec_lo, s6
	s_and_b32 s4, s4, exec_lo
.LBB9_1216:
	s_or_saveexec_b32 s5, s5
	v_bfrev_b32_e32 v4, 4
	v_mov_b32_e32 v5, 0x7ff80000
	s_xor_b32 exec_lo, exec_lo, s5
; %bb.1217:
	v_cmp_ne_u16_e32 vcc_lo, 0, v8
	v_mov_b32_e32 v4, 0
	v_mov_b32_e32 v5, 0
	s_andn2_b32 s4, s4, exec_lo
	s_and_b32 s6, vcc_lo, exec_lo
	s_or_b32 s4, s4, s6
; %bb.1218:
	s_or_b32 exec_lo, exec_lo, s5
	s_and_saveexec_b32 s5, s4
	s_cbranch_execz .LBB9_1220
; %bb.1219:
	v_and_b32_e32 v4, 0xffff, v8
	v_lshlrev_b32_e32 v8, 24, v8
	v_and_b32_e32 v5, 3, v4
	v_bfe_u32 v13, v4, 2, 5
	v_ffbh_u32_e32 v11, v5
	v_cmp_eq_u32_e32 vcc_lo, 0, v13
	v_min_u32_e32 v11, 32, v11
	v_subrev_nc_u32_e32 v12, 29, v11
	v_sub_nc_u32_e32 v11, 30, v11
	v_lshlrev_b32_e32 v4, v12, v4
	v_cndmask_b32_e32 v11, v13, v11, vcc_lo
	v_and_b32_e32 v4, 3, v4
	v_cndmask_b32_e32 v4, v5, v4, vcc_lo
	v_and_b32_e32 v5, 0x80000000, v8
	v_lshl_add_u32 v8, v11, 23, 0x37800000
	v_lshlrev_b32_e32 v4, 21, v4
	v_or3_b32 v4, v5, v8, v4
	v_cvt_f64_f32_e32 v[4:5], v4
.LBB9_1220:
	s_or_b32 exec_lo, exec_lo, s5
	s_mov_b32 s4, 0
	s_branch .LBB9_1224
.LBB9_1221:
                                        ; implicit-def: $vgpr4_vgpr5
	s_mov_b32 s4, 0
	s_branch .LBB9_1230
.LBB9_1222:
	s_mov_b32 s4, -1
                                        ; implicit-def: $vgpr4_vgpr5
	s_branch .LBB9_1227
.LBB9_1223:
	s_mov_b32 s4, -1
                                        ; implicit-def: $vgpr4_vgpr5
.LBB9_1224:
	s_and_b32 vcc_lo, exec_lo, s4
	s_cbranch_vccz .LBB9_1226
; %bb.1225:
	global_load_ubyte v4, v[0:1], off
	s_waitcnt vmcnt(0)
	v_lshlrev_b32_e32 v4, 24, v4
	v_and_b32_e32 v5, 0x7f000000, v4
	v_ffbh_u32_e32 v8, v5
	v_add_nc_u32_e32 v12, 0x1000000, v5
	v_cmp_ne_u32_e32 vcc_lo, 0, v5
	v_min_u32_e32 v8, 32, v8
	v_sub_nc_u32_e64 v8, v8, 4 clamp
	v_lshlrev_b32_e32 v11, v8, v5
	v_lshlrev_b32_e32 v8, 23, v8
	v_lshrrev_b32_e32 v11, 4, v11
	v_sub_nc_u32_e32 v8, v11, v8
	v_ashrrev_i32_e32 v11, 8, v12
	v_add_nc_u32_e32 v8, 0x3c000000, v8
	v_and_or_b32 v8, 0x7f800000, v11, v8
	v_cndmask_b32_e32 v5, 0, v8, vcc_lo
	v_and_or_b32 v4, 0x80000000, v4, v5
	v_cvt_f64_f32_e32 v[4:5], v4
.LBB9_1226:
	s_mov_b32 s4, 0
.LBB9_1227:
	s_andn2_b32 vcc_lo, exec_lo, s4
	s_cbranch_vccnz .LBB9_1229
; %bb.1228:
	global_load_ubyte v4, v[0:1], off
	s_waitcnt vmcnt(0)
	v_lshlrev_b32_e32 v5, 25, v4
	v_lshlrev_b16 v4, 8, v4
	v_lshrrev_b32_e32 v8, 4, v5
	v_and_or_b32 v11, 0x7f00, v4, 0.5
	v_cmp_gt_u32_e32 vcc_lo, 0x8000000, v5
	v_bfe_i32 v4, v4, 0, 16
	v_or_b32_e32 v8, 0x70000000, v8
	v_add_f32_e32 v11, -0.5, v11
	v_mul_f32_e32 v8, 0x7800000, v8
	v_cndmask_b32_e32 v5, v8, v11, vcc_lo
	v_and_or_b32 v4, 0x80000000, v4, v5
	v_cvt_f64_f32_e32 v[4:5], v4
.LBB9_1229:
	s_mov_b32 s5, -1
	s_mov_b32 s4, 0
	s_cbranch_execnz .LBB9_1238
.LBB9_1230:
	s_cmp_gt_i32 s1, 14
	s_cbranch_scc0 .LBB9_1233
; %bb.1231:
	s_cmp_eq_u32 s1, 15
	s_cbranch_scc0 .LBB9_1234
; %bb.1232:
	global_load_ushort v4, v[0:1], off
	s_mov_b32 s3, 0
	s_mov_b32 s5, -1
	s_waitcnt vmcnt(0)
	v_lshlrev_b32_e32 v4, 16, v4
	v_cvt_f64_f32_e32 v[4:5], v4
	s_branch .LBB9_1236
.LBB9_1233:
	s_mov_b32 s4, -1
	s_branch .LBB9_1235
.LBB9_1234:
	s_mov_b32 s3, -1
.LBB9_1235:
                                        ; implicit-def: $vgpr4_vgpr5
.LBB9_1236:
	s_and_b32 vcc_lo, exec_lo, s4
	s_mov_b32 s4, 0
	s_cbranch_vccz .LBB9_1238
; %bb.1237:
	s_cmp_lg_u32 s1, 11
	s_mov_b32 s4, -1
	s_cselect_b32 s3, -1, 0
.LBB9_1238:
	s_and_b32 vcc_lo, exec_lo, s3
	s_mov_b32 s1, s12
	s_cbranch_vccnz .LBB9_1303
; %bb.1239:
	s_andn2_b32 vcc_lo, exec_lo, s4
	s_cbranch_vccnz .LBB9_1241
.LBB9_1240:
	global_load_ubyte v4, v[0:1], off
	s_mov_b32 s5, -1
	s_waitcnt vmcnt(0)
	v_cmp_ne_u16_e32 vcc_lo, 0, v4
	v_mov_b32_e32 v4, 0
	v_cndmask_b32_e64 v5, 0, 0x3ff00000, vcc_lo
.LBB9_1241:
	s_branch .LBB9_1170
.LBB9_1242:
	s_and_b32 s0, 0xffff, s0
	s_cmp_lt_i32 s0, 5
	s_cbranch_scc1 .LBB9_1247
; %bb.1243:
	s_cmp_lt_i32 s0, 8
	s_cbranch_scc1 .LBB9_1248
; %bb.1244:
	;; [unrolled: 3-line block ×3, first 2 shown]
	s_cmp_gt_i32 s0, 9
	s_cbranch_scc0 .LBB9_1250
; %bb.1246:
	global_load_dwordx2 v[4:5], v[0:1], off
	s_mov_b32 s3, 0
	s_branch .LBB9_1251
.LBB9_1247:
                                        ; implicit-def: $vgpr4_vgpr5
	s_branch .LBB9_1268
.LBB9_1248:
                                        ; implicit-def: $vgpr4_vgpr5
	s_branch .LBB9_1257
.LBB9_1249:
	s_mov_b32 s3, -1
                                        ; implicit-def: $vgpr4_vgpr5
	s_branch .LBB9_1254
.LBB9_1250:
	s_mov_b32 s3, -1
                                        ; implicit-def: $vgpr4_vgpr5
.LBB9_1251:
	s_andn2_b32 vcc_lo, exec_lo, s3
	s_cbranch_vccnz .LBB9_1253
; %bb.1252:
	global_load_dword v4, v[0:1], off
	s_waitcnt vmcnt(0)
	v_cvt_f64_f32_e32 v[4:5], v4
.LBB9_1253:
	s_mov_b32 s3, 0
.LBB9_1254:
	s_andn2_b32 vcc_lo, exec_lo, s3
	s_cbranch_vccnz .LBB9_1256
; %bb.1255:
	global_load_dword v4, v[0:1], off
	s_waitcnt vmcnt(0)
	v_cvt_f32_f16_e32 v4, v4
	v_cvt_f64_f32_e32 v[4:5], v4
.LBB9_1256:
	s_cbranch_execnz .LBB9_1267
.LBB9_1257:
	s_cmp_lt_i32 s0, 6
	s_cbranch_scc1 .LBB9_1260
; %bb.1258:
	s_cmp_gt_i32 s0, 6
	s_cbranch_scc0 .LBB9_1261
; %bb.1259:
	global_load_dwordx2 v[4:5], v[0:1], off
	s_mov_b32 s3, 0
	s_branch .LBB9_1262
.LBB9_1260:
	s_mov_b32 s3, -1
                                        ; implicit-def: $vgpr4_vgpr5
	s_branch .LBB9_1265
.LBB9_1261:
	s_mov_b32 s3, -1
                                        ; implicit-def: $vgpr4_vgpr5
.LBB9_1262:
	s_andn2_b32 vcc_lo, exec_lo, s3
	s_cbranch_vccnz .LBB9_1264
; %bb.1263:
	global_load_dword v4, v[0:1], off
	s_waitcnt vmcnt(0)
	v_cvt_f64_f32_e32 v[4:5], v4
.LBB9_1264:
	s_mov_b32 s3, 0
.LBB9_1265:
	s_andn2_b32 vcc_lo, exec_lo, s3
	s_cbranch_vccnz .LBB9_1267
; %bb.1266:
	global_load_ushort v4, v[0:1], off
	s_waitcnt vmcnt(0)
	v_cvt_f32_f16_e32 v4, v4
	v_cvt_f64_f32_e32 v[4:5], v4
.LBB9_1267:
	s_cbranch_execnz .LBB9_1286
.LBB9_1268:
	s_cmp_lt_i32 s0, 2
	s_cbranch_scc1 .LBB9_1272
; %bb.1269:
	s_cmp_lt_i32 s0, 3
	s_cbranch_scc1 .LBB9_1273
; %bb.1270:
	s_cmp_gt_i32 s0, 3
	s_cbranch_scc0 .LBB9_1274
; %bb.1271:
	global_load_dwordx2 v[4:5], v[0:1], off
	s_mov_b32 s3, 0
	s_waitcnt vmcnt(0)
	v_cvt_f64_i32_e32 v[11:12], v5
	v_cvt_f64_u32_e32 v[4:5], v4
	v_ldexp_f64 v[11:12], v[11:12], 32
	v_add_f64 v[4:5], v[11:12], v[4:5]
	s_branch .LBB9_1275
.LBB9_1272:
                                        ; implicit-def: $vgpr4_vgpr5
	s_branch .LBB9_1281
.LBB9_1273:
	s_mov_b32 s3, -1
                                        ; implicit-def: $vgpr4_vgpr5
	s_branch .LBB9_1278
.LBB9_1274:
	s_mov_b32 s3, -1
                                        ; implicit-def: $vgpr4_vgpr5
.LBB9_1275:
	s_andn2_b32 vcc_lo, exec_lo, s3
	s_cbranch_vccnz .LBB9_1277
; %bb.1276:
	global_load_dword v4, v[0:1], off
	s_waitcnt vmcnt(0)
	v_cvt_f64_i32_e32 v[4:5], v4
.LBB9_1277:
	s_mov_b32 s3, 0
.LBB9_1278:
	s_andn2_b32 vcc_lo, exec_lo, s3
	s_cbranch_vccnz .LBB9_1280
; %bb.1279:
	global_load_sshort v4, v[0:1], off
	s_waitcnt vmcnt(0)
	v_cvt_f64_i32_e32 v[4:5], v4
.LBB9_1280:
	s_cbranch_execnz .LBB9_1286
.LBB9_1281:
	s_cmp_gt_i32 s0, 0
	s_mov_b32 s0, 0
	s_cbranch_scc0 .LBB9_1283
; %bb.1282:
	global_load_sbyte v4, v[0:1], off
	s_waitcnt vmcnt(0)
	v_cvt_f64_i32_e32 v[4:5], v4
	s_branch .LBB9_1284
.LBB9_1283:
	s_mov_b32 s0, -1
                                        ; implicit-def: $vgpr4_vgpr5
.LBB9_1284:
	s_andn2_b32 vcc_lo, exec_lo, s0
	s_cbranch_vccnz .LBB9_1286
; %bb.1285:
	global_load_ubyte v0, v[0:1], off
	s_waitcnt vmcnt(0)
	v_cvt_f64_u32_e32 v[4:5], v0
.LBB9_1286:
.LBB9_1287:
	s_waitcnt vmcnt(0)
	v_cmp_ge_f64_e64 s0, 0x40200000, |v[4:5]|
                                        ; implicit-def: $vgpr0_vgpr1
	s_and_saveexec_b32 s3, s0
	s_xor_b32 s0, exec_lo, s3
	s_cbranch_execz .LBB9_1289
; %bb.1288:
	v_fma_f64 v[0:1], |v[4:5]|, 0.5, -2.0
	s_mov_b32 s4, 0x977da589
	s_mov_b32 s5, 0x3c833362
	;; [unrolled: 1-line block ×4, first 2 shown]
	v_fma_f64 v[11:12], v[0:1], s[6:7], s[4:5]
	s_mov_b32 s7, 0x3c545cb7
	s_mov_b32 s4, 0x721ebbb4
	s_mov_b32 s5, 0xbcb184eb
	v_fma_f64 v[15:16], v[0:1], v[11:12], s[6:7]
	s_mov_b32 s6, 0x3b39803f
	s_mov_b32 s7, 0xbc7abc9e
	v_add_f64 v[15:16], v[15:16], s[4:5]
	s_mov_b32 s4, 0x93f65eba
	s_mov_b32 s5, 0x3cdee6d8
	v_fma_f64 v[11:12], v[0:1], v[15:16], -v[11:12]
	v_add_f64 v[11:12], v[11:12], s[4:5]
	s_mov_b32 s4, 0xc297fbeb
	s_mov_b32 s5, 0xbd0a5022
	v_fma_f64 v[15:16], v[0:1], v[11:12], -v[15:16]
	;; [unrolled: 4-line block ×20, first 2 shown]
	v_add_f64 v[15:16], v[15:16], s[4:5]
	s_mov_b32 s4, 0x652b82fe
	s_mov_b32 s5, 0x3ff71547
	v_mul_f64 v[17:18], |v[4:5]|, s[4:5]
	s_mov_b32 s4, 0xf3dde3dd
	s_mov_b32 s5, 0x3f859961
	v_fma_f64 v[11:12], v[0:1], v[15:16], -v[11:12]
	v_rndne_f64_e32 v[17:18], v[17:18]
	v_add_f64 v[11:12], v[11:12], s[4:5]
	s_mov_b32 s4, 0xfefa39ef
	s_mov_b32 s5, 0xbfe62e42
	v_fma_f64 v[4:5], v[17:18], s[4:5], |v[4:5]|
	s_mov_b32 s4, 0xf121b6f0
	s_mov_b32 s5, 0xbf984e9e
	v_cvt_i32_f64_e32 v8, v[17:18]
	v_fma_f64 v[15:16], v[0:1], v[11:12], -v[15:16]
	v_fma_f64 v[4:5], v[17:18], s[6:7], v[4:5]
	s_mov_b32 s6, 0x6a5dcb37
	s_mov_b32 s7, 0x3e5ade15
	v_add_f64 v[15:16], v[15:16], s[4:5]
	s_mov_b32 s4, 0xfca7ab0c
	s_mov_b32 s5, 0x3e928af3
	v_fma_f64 v[19:20], v[4:5], s[6:7], s[4:5]
	s_mov_b32 s4, 0xcea8a32d
	s_mov_b32 s6, 0x623fde64
	;; [unrolled: 1-line block ×4, first 2 shown]
	v_fma_f64 v[11:12], v[0:1], v[15:16], -v[11:12]
	v_fma_f64 v[19:20], v[4:5], v[19:20], s[6:7]
	s_mov_b32 s6, 0x14761f6e
	s_mov_b32 s7, 0x3f2a01a0
	v_add_f64 v[11:12], v[11:12], s[4:5]
	s_mov_b32 s4, 0x7c89e6b0
	s_mov_b32 s5, 0x3efa0199
	v_fma_f64 v[19:20], v[4:5], v[19:20], s[4:5]
	s_mov_b32 s4, 0x342d06ea
	s_mov_b32 s5, 0xbfb84b70
	v_fma_f64 v[15:16], v[0:1], v[11:12], -v[15:16]
	v_fma_f64 v[19:20], v[4:5], v[19:20], s[6:7]
	s_mov_b32 s6, 0x11122322
	s_mov_b32 s7, 0x3f811111
	v_add_f64 v[15:16], v[15:16], s[4:5]
	s_mov_b32 s4, 0x1852b7b0
	s_mov_b32 s5, 0x3f56c16c
	v_fma_f64 v[19:20], v[4:5], v[19:20], s[4:5]
	s_mov_b32 s4, 0x77ac88c0
	s_mov_b32 s5, 0x3fc5f7ac
	;; [unrolled: 10-line block ×3, first 2 shown]
	v_fma_f64 v[15:16], v[0:1], v[11:12], -v[15:16]
	v_fma_f64 v[19:20], v[4:5], v[19:20], s[6:7]
	v_add_f64 v[15:16], v[15:16], s[4:5]
	s_mov_b32 s4, 11
	s_mov_b32 s5, 0x3fe00000
	v_fma_f64 v[19:20], v[4:5], v[19:20], s[4:5]
	s_mov_b32 s4, 0x9035a22a
	s_mov_b32 s5, 0x3fe5a84e
	v_fma_f64 v[0:1], v[0:1], v[15:16], -v[11:12]
	v_fma_f64 v[15:16], v[4:5], v[19:20], 1.0
	v_add_f64 v[0:1], v[0:1], s[4:5]
	v_fma_f64 v[4:5], v[4:5], v[15:16], 1.0
	v_add_f64 v[0:1], v[0:1], -v[11:12]
	v_ldexp_f64 v[4:5], v[4:5], v8
	v_mul_f64 v[0:1], v[0:1], 0.5
	v_mul_f64 v[0:1], v[4:5], v[0:1]
                                        ; implicit-def: $vgpr4_vgpr5
.LBB9_1289:
	s_andn2_saveexec_b32 s3, s0
	s_cbranch_execz .LBB9_1291
; %bb.1290:
	v_and_b32_e32 v1, 0x7fffffff, v5
	v_mov_b32_e32 v0, v4
	s_mov_b32 s4, 0x66119130
	s_mov_b32 s5, 0xbc5646da
	;; [unrolled: 1-line block ×4, first 2 shown]
	v_div_scale_f64 v[11:12], null, v[0:1], v[0:1], 0x40400000
	v_div_scale_f64 v[0:1], vcc_lo, 0x40400000, v[0:1], 0x40400000
	v_cmp_gt_f64_e64 s0, 0x10000000, |v[4:5]|
	v_rcp_f64_e32 v[15:16], v[11:12]
	v_cndmask_b32_e64 v8, 0, 0x100, s0
	v_ldexp_f64 v[23:24], |v[4:5]|, v8
	v_fma_f64 v[17:18], -v[11:12], v[15:16], 1.0
	v_rsq_f64_e32 v[25:26], v[23:24]
	v_fma_f64 v[15:16], v[15:16], v[17:18], v[15:16]
	v_mul_f64 v[27:28], v[23:24], v[25:26]
	v_mul_f64 v[25:26], v[25:26], 0.5
	v_fma_f64 v[17:18], -v[11:12], v[15:16], 1.0
	v_fma_f64 v[29:30], -v[25:26], v[27:28], 0.5
	v_fma_f64 v[15:16], v[15:16], v[17:18], v[15:16]
	v_fma_f64 v[27:28], v[27:28], v[29:30], v[27:28]
	;; [unrolled: 1-line block ×3, first 2 shown]
	v_mul_f64 v[17:18], v[0:1], v[15:16]
	v_fma_f64 v[29:30], -v[27:28], v[27:28], v[23:24]
	v_fma_f64 v[0:1], -v[11:12], v[17:18], v[0:1]
	v_div_fmas_f64 v[0:1], v[0:1], v[15:16], v[17:18]
	v_cmp_nlt_f64_e64 vcc_lo, 0x40900000, |v[4:5]|
	v_div_fixup_f64 v[0:1], v[0:1], |v[4:5]|, 0x40400000
	v_add_f64 v[0:1], v[0:1], -2.0
	v_fma_f64 v[11:12], v[0:1], s[6:7], s[4:5]
	s_mov_b32 s7, 0x3c60adb7
	s_mov_b32 s4, 0x12d98421
	;; [unrolled: 1-line block ×3, first 2 shown]
	v_fma_f64 v[15:16], v[0:1], v[11:12], s[6:7]
	s_mov_b32 s6, 0x6a5dcb37
	s_mov_b32 s7, 0x3e5ade15
	v_add_f64 v[15:16], v[15:16], s[4:5]
	s_mov_b32 s4, 0x76041cd
	s_mov_b32 s5, 0x3c83f3dd
	v_fma_f64 v[11:12], v[0:1], v[15:16], -v[11:12]
	v_add_f64 v[11:12], v[11:12], s[4:5]
	s_mov_b32 s4, 0xabd21fe4
	s_mov_b32 s5, 0xbcb4600b
	v_fma_f64 v[15:16], v[0:1], v[11:12], -v[15:16]
	;; [unrolled: 4-line block ×15, first 2 shown]
	v_add_f64 v[11:12], v[11:12], s[4:5]
	s_mov_b32 s4, 0x652b82fe
	s_mov_b32 s5, 0x3ff71547
	v_mul_f64 v[17:18], |v[4:5]|, s[4:5]
	s_mov_b32 s4, 0xa9225b87
	s_mov_b32 s5, 0x3e2d2c64
	v_fma_f64 v[15:16], v[0:1], v[11:12], -v[15:16]
	v_rndne_f64_e32 v[17:18], v[17:18]
	v_add_f64 v[15:16], v[15:16], s[4:5]
	s_mov_b32 s4, 0xfefa39ef
	s_mov_b32 s5, 0xbfe62e42
	v_fma_f64 v[19:20], v[17:18], s[4:5], |v[4:5]|
	s_mov_b32 s4, 0x3b39803f
	s_mov_b32 s5, 0xbc7abc9e
	v_cvt_i32_f64_e32 v8, v[17:18]
	v_cndmask_b32_e64 v4, 0, 0xffffff80, s0
	v_cmp_class_f64_e64 s0, v[23:24], 0x260
	v_fma_f64 v[11:12], v[0:1], v[15:16], -v[11:12]
	v_fma_f64 v[19:20], v[17:18], s[4:5], v[19:20]
	s_mov_b32 s4, 0x80d6d56d
	s_mov_b32 s5, 0x3e585692
	v_add_f64 v[11:12], v[11:12], s[4:5]
	s_mov_b32 s4, 0xfca7ab0c
	s_mov_b32 s5, 0x3e928af3
	v_fma_f64 v[21:22], v[19:20], s[6:7], s[4:5]
	s_mov_b32 s4, 0x623fde64
	s_mov_b32 s5, 0x3ec71dee
	v_fma_f64 v[15:16], v[0:1], v[11:12], -v[15:16]
	v_fma_f64 v[21:22], v[19:20], v[21:22], s[4:5]
	s_mov_b32 s4, 0xd9cd616e
	s_mov_b32 s5, 0x3e8b8007
	v_add_f64 v[15:16], v[15:16], s[4:5]
	s_mov_b32 s4, 0x7c89e6b0
	s_mov_b32 s5, 0x3efa0199
	v_fma_f64 v[21:22], v[19:20], v[21:22], s[4:5]
	s_mov_b32 s4, 0x14761f6e
	s_mov_b32 s5, 0x3f2a01a0
	;; [unrolled: 10-line block ×5, first 2 shown]
	v_fma_f64 v[0:1], v[0:1], v[11:12], -v[15:16]
	v_fma_f64 v[11:12], v[29:30], v[25:26], v[27:28]
	v_fma_f64 v[21:22], v[19:20], v[21:22], 1.0
	v_add_f64 v[0:1], v[0:1], s[4:5]
	v_fma_f64 v[27:28], -v[11:12], v[11:12], v[23:24]
	v_fma_f64 v[17:18], v[19:20], v[21:22], 1.0
	v_add_f64 v[0:1], v[0:1], -v[15:16]
	v_fma_f64 v[11:12], v[27:28], v[25:26], v[11:12]
	v_ldexp_f64 v[15:16], v[17:18], v8
	v_mul_f64 v[0:1], v[0:1], 0.5
	v_ldexp_f64 v[4:5], v[11:12], v4
	v_cndmask_b32_e32 v12, 0x7ff00000, v16, vcc_lo
	v_cndmask_b32_e32 v11, 0, v15, vcc_lo
	v_mul_f64 v[0:1], v[11:12], v[0:1]
	v_cndmask_b32_e64 v5, v5, v24, s0
	v_cndmask_b32_e64 v4, v4, v23, s0
	v_div_scale_f64 v[11:12], null, v[4:5], v[4:5], v[0:1]
	v_rcp_f64_e32 v[15:16], v[11:12]
	v_fma_f64 v[17:18], -v[11:12], v[15:16], 1.0
	v_fma_f64 v[15:16], v[15:16], v[17:18], v[15:16]
	v_fma_f64 v[17:18], -v[11:12], v[15:16], 1.0
	v_fma_f64 v[15:16], v[15:16], v[17:18], v[15:16]
	v_div_scale_f64 v[17:18], vcc_lo, v[0:1], v[4:5], v[0:1]
	v_mul_f64 v[19:20], v[17:18], v[15:16]
	v_fma_f64 v[11:12], -v[11:12], v[19:20], v[17:18]
	v_div_fmas_f64 v[11:12], v[11:12], v[15:16], v[19:20]
	v_div_fixup_f64 v[0:1], v[11:12], v[4:5], v[0:1]
.LBB9_1291:
	s_or_b32 exec_lo, exec_lo, s3
	v_add_co_u32 v4, s3, s10, v9
	s_lshr_b32 s0, s2, 16
	v_add_co_ci_u32_e64 v5, null, s11, 0, s3
	s_and_b32 s3, s0, 0xff
	s_cmp_lt_i32 s3, 11
	s_cbranch_scc1 .LBB9_1298
; %bb.1292:
	s_and_b32 s0, 0xffff, s3
	s_mov_b32 s5, 0
	s_cmp_gt_i32 s0, 25
	s_cbranch_scc0 .LBB9_1300
; %bb.1293:
	s_cmp_gt_i32 s0, 28
	s_cbranch_scc0 .LBB9_1301
; %bb.1294:
	;; [unrolled: 3-line block ×4, first 2 shown]
	s_cmp_eq_u32 s0, 46
	s_mov_b32 s7, 0
	s_cbranch_scc0 .LBB9_1307
; %bb.1297:
	global_load_dword v8, v[4:5], off
	s_mov_b32 s4, 0
	s_mov_b32 s6, -1
	s_waitcnt vmcnt(0)
	v_lshlrev_b32_e32 v8, 16, v8
	v_cvt_f64_f32_e32 v[8:9], v8
	s_branch .LBB9_1309
.LBB9_1298:
	s_mov_b32 s6, 0
                                        ; implicit-def: $vgpr8_vgpr9
	s_cbranch_execnz .LBB9_1374
.LBB9_1299:
	s_andn2_b32 vcc_lo, exec_lo, s6
	s_cbranch_vccnz .LBB9_1772
	s_branch .LBB9_1421
.LBB9_1300:
	s_mov_b32 s6, 0
	s_mov_b32 s4, 0
                                        ; implicit-def: $vgpr8_vgpr9
	s_cbranch_execnz .LBB9_1340
	s_branch .LBB9_1370
.LBB9_1301:
	s_mov_b32 s7, -1
	s_mov_b32 s6, 0
	s_mov_b32 s4, 0
                                        ; implicit-def: $vgpr8_vgpr9
	s_branch .LBB9_1319
.LBB9_1302:
	s_mov_b32 s7, -1
	s_mov_b32 s6, 0
	s_mov_b32 s4, 0
                                        ; implicit-def: $vgpr8_vgpr9
	s_branch .LBB9_1314
.LBB9_1303:
	s_or_b32 s1, s12, exec_lo
	s_trap 2
	s_cbranch_execz .LBB9_1240
	s_branch .LBB9_1241
.LBB9_1304:
	s_mov_b32 s7, -1
	s_mov_b32 s6, 0
	s_mov_b32 s4, 0
	s_branch .LBB9_1308
.LBB9_1305:
	s_andn2_saveexec_b32 s12, s12
	s_cbranch_execz .LBB9_1030
.LBB9_1306:
	v_add_f32_e64 v3, 0x42800000, |v2|
	s_andn2_b32 s11, s11, exec_lo
	v_and_b32_e32 v3, 0xff, v3
	v_cmp_ne_u32_e32 vcc_lo, 0, v3
	s_and_b32 s13, vcc_lo, exec_lo
	s_or_b32 s11, s11, s13
	s_or_b32 exec_lo, exec_lo, s12
	v_mov_b32_e32 v4, 0
	s_and_saveexec_b32 s12, s11
	s_cbranch_execnz .LBB9_1031
	s_branch .LBB9_1032
.LBB9_1307:
	s_mov_b32 s4, -1
	s_mov_b32 s6, 0
.LBB9_1308:
                                        ; implicit-def: $vgpr8_vgpr9
.LBB9_1309:
	s_and_b32 vcc_lo, exec_lo, s7
	s_cbranch_vccz .LBB9_1313
; %bb.1310:
	s_cmp_eq_u32 s0, 44
	s_cbranch_scc0 .LBB9_1312
; %bb.1311:
	global_load_ubyte v11, v[4:5], off
	s_mov_b32 s4, 0
	s_mov_b32 s6, -1
	s_waitcnt vmcnt(0)
	v_lshlrev_b32_e32 v8, 23, v11
	v_cmp_ne_u32_e32 vcc_lo, 0xff, v11
	v_cvt_f64_f32_e32 v[8:9], v8
	v_cndmask_b32_e32 v8, 0x20000000, v8, vcc_lo
	v_cndmask_b32_e32 v9, 0x7ff80000, v9, vcc_lo
	v_cmp_ne_u32_e32 vcc_lo, 0, v11
	v_cndmask_b32_e32 v9, 0x38000000, v9, vcc_lo
	v_cndmask_b32_e32 v8, 0, v8, vcc_lo
	s_branch .LBB9_1313
.LBB9_1312:
	s_mov_b32 s4, -1
                                        ; implicit-def: $vgpr8_vgpr9
.LBB9_1313:
	s_mov_b32 s7, 0
.LBB9_1314:
	s_and_b32 vcc_lo, exec_lo, s7
	s_cbranch_vccz .LBB9_1318
; %bb.1315:
	s_cmp_eq_u32 s0, 29
	s_cbranch_scc0 .LBB9_1317
; %bb.1316:
	global_load_dwordx2 v[8:9], v[4:5], off
	s_mov_b32 s4, 0
	s_mov_b32 s6, -1
	s_mov_b32 s7, 0
	s_waitcnt vmcnt(0)
	v_cvt_f64_u32_e32 v[11:12], v9
	v_cvt_f64_u32_e32 v[8:9], v8
	v_ldexp_f64 v[11:12], v[11:12], 32
	v_add_f64 v[8:9], v[11:12], v[8:9]
	s_branch .LBB9_1319
.LBB9_1317:
	s_mov_b32 s4, -1
                                        ; implicit-def: $vgpr8_vgpr9
.LBB9_1318:
	s_mov_b32 s7, 0
.LBB9_1319:
	s_and_b32 vcc_lo, exec_lo, s7
	s_cbranch_vccz .LBB9_1339
; %bb.1320:
	s_cmp_lt_i32 s0, 27
	s_cbranch_scc1 .LBB9_1323
; %bb.1321:
	s_cmp_gt_i32 s0, 27
	s_cbranch_scc0 .LBB9_1324
; %bb.1322:
	global_load_dword v8, v[4:5], off
	s_mov_b32 s6, 0
	s_waitcnt vmcnt(0)
	v_cvt_f64_u32_e32 v[8:9], v8
	s_branch .LBB9_1325
.LBB9_1323:
	s_mov_b32 s6, -1
                                        ; implicit-def: $vgpr8_vgpr9
	s_branch .LBB9_1328
.LBB9_1324:
	s_mov_b32 s6, -1
                                        ; implicit-def: $vgpr8_vgpr9
.LBB9_1325:
	s_andn2_b32 vcc_lo, exec_lo, s6
	s_cbranch_vccnz .LBB9_1327
; %bb.1326:
	global_load_ushort v8, v[4:5], off
	s_waitcnt vmcnt(0)
	v_cvt_f64_u32_e32 v[8:9], v8
.LBB9_1327:
	s_mov_b32 s6, 0
.LBB9_1328:
	s_andn2_b32 vcc_lo, exec_lo, s6
	s_cbranch_vccnz .LBB9_1338
; %bb.1329:
	global_load_ubyte v11, v[4:5], off
	s_mov_b32 s6, 0
	s_mov_b32 s7, exec_lo
	s_waitcnt vmcnt(0)
	v_cmpx_lt_i16_e32 0x7f, v11
	s_xor_b32 s7, exec_lo, s7
	s_cbranch_execz .LBB9_1333
; %bb.1330:
	s_mov_b32 s6, -1
	s_mov_b32 s14, exec_lo
	v_cmpx_eq_u16_e32 0x80, v11
; %bb.1331:
	s_xor_b32 s6, exec_lo, -1
; %bb.1332:
	s_or_b32 exec_lo, exec_lo, s14
	s_and_b32 s6, s6, exec_lo
.LBB9_1333:
	s_or_saveexec_b32 s7, s7
	v_bfrev_b32_e32 v8, 4
	v_mov_b32_e32 v9, 0x7ff80000
	s_xor_b32 exec_lo, exec_lo, s7
; %bb.1334:
	v_cmp_ne_u16_e32 vcc_lo, 0, v11
	v_mov_b32_e32 v8, 0
	v_mov_b32_e32 v9, 0
	s_andn2_b32 s6, s6, exec_lo
	s_and_b32 s14, vcc_lo, exec_lo
	s_or_b32 s6, s6, s14
; %bb.1335:
	s_or_b32 exec_lo, exec_lo, s7
	s_and_saveexec_b32 s7, s6
	s_cbranch_execz .LBB9_1337
; %bb.1336:
	v_and_b32_e32 v8, 0xffff, v11
	v_lshlrev_b32_e32 v11, 24, v11
	v_and_b32_e32 v9, 7, v8
	v_bfe_u32 v15, v8, 3, 4
	v_ffbh_u32_e32 v12, v9
	v_cmp_eq_u32_e32 vcc_lo, 0, v15
	v_min_u32_e32 v12, 32, v12
	v_subrev_nc_u32_e32 v13, 28, v12
	v_sub_nc_u32_e32 v12, 29, v12
	v_lshlrev_b32_e32 v8, v13, v8
	v_cndmask_b32_e32 v12, v15, v12, vcc_lo
	v_and_b32_e32 v8, 7, v8
	v_cndmask_b32_e32 v8, v9, v8, vcc_lo
	v_and_b32_e32 v9, 0x80000000, v11
	v_lshl_add_u32 v11, v12, 23, 0x3b800000
	v_lshlrev_b32_e32 v8, 20, v8
	v_or3_b32 v8, v9, v11, v8
	v_cvt_f64_f32_e32 v[8:9], v8
.LBB9_1337:
	s_or_b32 exec_lo, exec_lo, s7
.LBB9_1338:
	s_mov_b32 s6, -1
.LBB9_1339:
	s_branch .LBB9_1370
.LBB9_1340:
	s_cmp_gt_i32 s0, 22
	s_cbranch_scc0 .LBB9_1352
; %bb.1341:
	s_cmp_lt_i32 s0, 24
	s_cbranch_scc1 .LBB9_1353
; %bb.1342:
	s_cmp_gt_i32 s0, 24
	s_cbranch_scc0 .LBB9_1354
; %bb.1343:
	global_load_ubyte v11, v[4:5], off
	s_mov_b32 s6, exec_lo
	s_waitcnt vmcnt(0)
	v_cmpx_lt_i16_e32 0x7f, v11
	s_xor_b32 s6, exec_lo, s6
	s_cbranch_execz .LBB9_1347
; %bb.1344:
	s_mov_b32 s5, -1
	s_mov_b32 s7, exec_lo
	v_cmpx_eq_u16_e32 0x80, v11
; %bb.1345:
	s_xor_b32 s5, exec_lo, -1
; %bb.1346:
	s_or_b32 exec_lo, exec_lo, s7
	s_and_b32 s5, s5, exec_lo
.LBB9_1347:
	s_or_saveexec_b32 s6, s6
	v_bfrev_b32_e32 v8, 4
	v_mov_b32_e32 v9, 0x7ff80000
	s_xor_b32 exec_lo, exec_lo, s6
; %bb.1348:
	v_cmp_ne_u16_e32 vcc_lo, 0, v11
	v_mov_b32_e32 v8, 0
	v_mov_b32_e32 v9, 0
	s_andn2_b32 s5, s5, exec_lo
	s_and_b32 s7, vcc_lo, exec_lo
	s_or_b32 s5, s5, s7
; %bb.1349:
	s_or_b32 exec_lo, exec_lo, s6
	s_and_saveexec_b32 s6, s5
	s_cbranch_execz .LBB9_1351
; %bb.1350:
	v_and_b32_e32 v8, 0xffff, v11
	v_lshlrev_b32_e32 v11, 24, v11
	v_and_b32_e32 v9, 3, v8
	v_bfe_u32 v15, v8, 2, 5
	v_ffbh_u32_e32 v12, v9
	v_cmp_eq_u32_e32 vcc_lo, 0, v15
	v_min_u32_e32 v12, 32, v12
	v_subrev_nc_u32_e32 v13, 29, v12
	v_sub_nc_u32_e32 v12, 30, v12
	v_lshlrev_b32_e32 v8, v13, v8
	v_cndmask_b32_e32 v12, v15, v12, vcc_lo
	v_and_b32_e32 v8, 3, v8
	v_cndmask_b32_e32 v8, v9, v8, vcc_lo
	v_and_b32_e32 v9, 0x80000000, v11
	v_lshl_add_u32 v11, v12, 23, 0x37800000
	v_lshlrev_b32_e32 v8, 21, v8
	v_or3_b32 v8, v9, v11, v8
	v_cvt_f64_f32_e32 v[8:9], v8
.LBB9_1351:
	s_or_b32 exec_lo, exec_lo, s6
	s_mov_b32 s5, 0
	s_branch .LBB9_1355
.LBB9_1352:
	s_mov_b32 s5, -1
                                        ; implicit-def: $vgpr8_vgpr9
	s_branch .LBB9_1361
.LBB9_1353:
	s_mov_b32 s5, -1
                                        ; implicit-def: $vgpr8_vgpr9
	s_branch .LBB9_1358
.LBB9_1354:
	s_mov_b32 s5, -1
                                        ; implicit-def: $vgpr8_vgpr9
.LBB9_1355:
	s_and_b32 vcc_lo, exec_lo, s5
	s_cbranch_vccz .LBB9_1357
; %bb.1356:
	global_load_ubyte v8, v[4:5], off
	s_waitcnt vmcnt(0)
	v_lshlrev_b32_e32 v8, 24, v8
	v_and_b32_e32 v9, 0x7f000000, v8
	v_ffbh_u32_e32 v11, v9
	v_add_nc_u32_e32 v13, 0x1000000, v9
	v_cmp_ne_u32_e32 vcc_lo, 0, v9
	v_min_u32_e32 v11, 32, v11
	v_sub_nc_u32_e64 v11, v11, 4 clamp
	v_lshlrev_b32_e32 v12, v11, v9
	v_lshlrev_b32_e32 v11, 23, v11
	v_lshrrev_b32_e32 v12, 4, v12
	v_sub_nc_u32_e32 v11, v12, v11
	v_ashrrev_i32_e32 v12, 8, v13
	v_add_nc_u32_e32 v11, 0x3c000000, v11
	v_and_or_b32 v11, 0x7f800000, v12, v11
	v_cndmask_b32_e32 v9, 0, v11, vcc_lo
	v_and_or_b32 v8, 0x80000000, v8, v9
	v_cvt_f64_f32_e32 v[8:9], v8
.LBB9_1357:
	s_mov_b32 s5, 0
.LBB9_1358:
	s_andn2_b32 vcc_lo, exec_lo, s5
	s_cbranch_vccnz .LBB9_1360
; %bb.1359:
	global_load_ubyte v8, v[4:5], off
	s_waitcnt vmcnt(0)
	v_lshlrev_b32_e32 v9, 25, v8
	v_lshlrev_b16 v8, 8, v8
	v_lshrrev_b32_e32 v11, 4, v9
	v_and_or_b32 v12, 0x7f00, v8, 0.5
	v_cmp_gt_u32_e32 vcc_lo, 0x8000000, v9
	v_bfe_i32 v8, v8, 0, 16
	v_or_b32_e32 v11, 0x70000000, v11
	v_add_f32_e32 v12, -0.5, v12
	v_mul_f32_e32 v11, 0x7800000, v11
	v_cndmask_b32_e32 v9, v11, v12, vcc_lo
	v_and_or_b32 v8, 0x80000000, v8, v9
	v_cvt_f64_f32_e32 v[8:9], v8
.LBB9_1360:
	s_mov_b32 s5, 0
	s_mov_b32 s6, -1
.LBB9_1361:
	s_andn2_b32 vcc_lo, exec_lo, s5
	s_mov_b32 s5, 0
	s_cbranch_vccnz .LBB9_1370
; %bb.1362:
	s_cmp_gt_i32 s0, 14
	s_cbranch_scc0 .LBB9_1365
; %bb.1363:
	s_cmp_eq_u32 s0, 15
	s_cbranch_scc0 .LBB9_1366
; %bb.1364:
	global_load_ushort v8, v[4:5], off
	s_mov_b32 s4, 0
	s_mov_b32 s6, -1
	s_waitcnt vmcnt(0)
	v_lshlrev_b32_e32 v8, 16, v8
	v_cvt_f64_f32_e32 v[8:9], v8
	s_branch .LBB9_1368
.LBB9_1365:
	s_mov_b32 s5, -1
	s_branch .LBB9_1367
.LBB9_1366:
	s_mov_b32 s4, -1
.LBB9_1367:
                                        ; implicit-def: $vgpr8_vgpr9
.LBB9_1368:
	s_and_b32 vcc_lo, exec_lo, s5
	s_mov_b32 s5, 0
	s_cbranch_vccz .LBB9_1370
; %bb.1369:
	s_cmp_lg_u32 s0, 11
	s_mov_b32 s5, -1
	s_cselect_b32 s4, -1, 0
.LBB9_1370:
	s_and_b32 vcc_lo, exec_lo, s4
	s_cbranch_vccnz .LBB9_1437
; %bb.1371:
	s_andn2_b32 vcc_lo, exec_lo, s5
	s_cbranch_vccnz .LBB9_1373
.LBB9_1372:
	global_load_ubyte v8, v[4:5], off
	s_mov_b32 s6, -1
	s_waitcnt vmcnt(0)
	v_cmp_ne_u16_e32 vcc_lo, 0, v8
	v_mov_b32_e32 v8, 0
	v_cndmask_b32_e64 v9, 0, 0x3ff00000, vcc_lo
.LBB9_1373:
	s_branch .LBB9_1299
.LBB9_1374:
	s_and_b32 s0, 0xffff, s3
	s_cmp_lt_i32 s0, 5
	s_cbranch_scc1 .LBB9_1379
; %bb.1375:
	s_cmp_lt_i32 s0, 8
	s_cbranch_scc1 .LBB9_1380
; %bb.1376:
	;; [unrolled: 3-line block ×3, first 2 shown]
	s_cmp_gt_i32 s0, 9
	s_cbranch_scc0 .LBB9_1382
; %bb.1378:
	global_load_dwordx2 v[8:9], v[4:5], off
	s_mov_b32 s4, 0
	s_branch .LBB9_1383
.LBB9_1379:
                                        ; implicit-def: $vgpr8_vgpr9
	s_branch .LBB9_1401
.LBB9_1380:
	s_mov_b32 s4, -1
                                        ; implicit-def: $vgpr8_vgpr9
	s_branch .LBB9_1389
.LBB9_1381:
	s_mov_b32 s4, -1
                                        ; implicit-def: $vgpr8_vgpr9
	s_branch .LBB9_1386
.LBB9_1382:
	s_mov_b32 s4, -1
                                        ; implicit-def: $vgpr8_vgpr9
.LBB9_1383:
	s_andn2_b32 vcc_lo, exec_lo, s4
	s_cbranch_vccnz .LBB9_1385
; %bb.1384:
	global_load_dword v8, v[4:5], off
	s_waitcnt vmcnt(0)
	v_cvt_f64_f32_e32 v[8:9], v8
.LBB9_1385:
	s_mov_b32 s4, 0
.LBB9_1386:
	s_andn2_b32 vcc_lo, exec_lo, s4
	s_cbranch_vccnz .LBB9_1388
; %bb.1387:
	global_load_dword v8, v[4:5], off
	s_waitcnt vmcnt(0)
	v_cvt_f32_f16_e32 v8, v8
	v_cvt_f64_f32_e32 v[8:9], v8
.LBB9_1388:
	s_mov_b32 s4, 0
.LBB9_1389:
	s_andn2_b32 vcc_lo, exec_lo, s4
	s_cbranch_vccnz .LBB9_1400
; %bb.1390:
	s_cmp_lt_i32 s0, 6
	s_cbranch_scc1 .LBB9_1393
; %bb.1391:
	s_cmp_gt_i32 s0, 6
	s_cbranch_scc0 .LBB9_1394
; %bb.1392:
	global_load_dwordx2 v[8:9], v[4:5], off
	s_mov_b32 s4, 0
	s_branch .LBB9_1395
.LBB9_1393:
	s_mov_b32 s4, -1
                                        ; implicit-def: $vgpr8_vgpr9
	s_branch .LBB9_1398
.LBB9_1394:
	s_mov_b32 s4, -1
                                        ; implicit-def: $vgpr8_vgpr9
.LBB9_1395:
	s_andn2_b32 vcc_lo, exec_lo, s4
	s_cbranch_vccnz .LBB9_1397
; %bb.1396:
	global_load_dword v8, v[4:5], off
	s_waitcnt vmcnt(0)
	v_cvt_f64_f32_e32 v[8:9], v8
.LBB9_1397:
	s_mov_b32 s4, 0
.LBB9_1398:
	s_andn2_b32 vcc_lo, exec_lo, s4
	s_cbranch_vccnz .LBB9_1400
; %bb.1399:
	global_load_ushort v8, v[4:5], off
	s_waitcnt vmcnt(0)
	v_cvt_f32_f16_e32 v8, v8
	v_cvt_f64_f32_e32 v[8:9], v8
.LBB9_1400:
	s_cbranch_execnz .LBB9_1420
.LBB9_1401:
	s_cmp_lt_i32 s0, 2
	s_cbranch_scc1 .LBB9_1405
; %bb.1402:
	s_cmp_lt_i32 s0, 3
	s_cbranch_scc1 .LBB9_1406
; %bb.1403:
	s_cmp_gt_i32 s0, 3
	s_cbranch_scc0 .LBB9_1407
; %bb.1404:
	global_load_dwordx2 v[8:9], v[4:5], off
	s_mov_b32 s4, 0
	s_waitcnt vmcnt(0)
	v_cvt_f64_i32_e32 v[11:12], v9
	v_cvt_f64_u32_e32 v[8:9], v8
	v_ldexp_f64 v[11:12], v[11:12], 32
	v_add_f64 v[8:9], v[11:12], v[8:9]
	s_branch .LBB9_1408
.LBB9_1405:
	s_mov_b32 s4, -1
                                        ; implicit-def: $vgpr8_vgpr9
	s_branch .LBB9_1414
.LBB9_1406:
	s_mov_b32 s4, -1
                                        ; implicit-def: $vgpr8_vgpr9
	s_branch .LBB9_1411
.LBB9_1407:
	s_mov_b32 s4, -1
                                        ; implicit-def: $vgpr8_vgpr9
.LBB9_1408:
	s_andn2_b32 vcc_lo, exec_lo, s4
	s_cbranch_vccnz .LBB9_1410
; %bb.1409:
	global_load_dword v8, v[4:5], off
	s_waitcnt vmcnt(0)
	v_cvt_f64_i32_e32 v[8:9], v8
.LBB9_1410:
	s_mov_b32 s4, 0
.LBB9_1411:
	s_andn2_b32 vcc_lo, exec_lo, s4
	s_cbranch_vccnz .LBB9_1413
; %bb.1412:
	global_load_sshort v8, v[4:5], off
	s_waitcnt vmcnt(0)
	v_cvt_f64_i32_e32 v[8:9], v8
.LBB9_1413:
	s_mov_b32 s4, 0
.LBB9_1414:
	s_andn2_b32 vcc_lo, exec_lo, s4
	s_cbranch_vccnz .LBB9_1420
; %bb.1415:
	s_cmp_gt_i32 s0, 0
	s_mov_b32 s0, 0
	s_cbranch_scc0 .LBB9_1417
; %bb.1416:
	global_load_sbyte v8, v[4:5], off
	s_waitcnt vmcnt(0)
	v_cvt_f64_i32_e32 v[8:9], v8
	s_branch .LBB9_1418
.LBB9_1417:
	s_mov_b32 s0, -1
                                        ; implicit-def: $vgpr8_vgpr9
.LBB9_1418:
	s_andn2_b32 vcc_lo, exec_lo, s0
	s_cbranch_vccnz .LBB9_1420
; %bb.1419:
	global_load_ubyte v4, v[4:5], off
	s_waitcnt vmcnt(0)
	v_cvt_f64_u32_e32 v[8:9], v4
.LBB9_1420:
.LBB9_1421:
	s_waitcnt vmcnt(0)
	v_cmp_ge_f64_e64 s0, 0x40200000, |v[8:9]|
                                        ; implicit-def: $vgpr4_vgpr5
	s_and_saveexec_b32 s4, s0
	s_xor_b32 s0, exec_lo, s4
	s_cbranch_execz .LBB9_1423
; %bb.1422:
	v_fma_f64 v[4:5], |v[8:9]|, 0.5, -2.0
	s_mov_b32 s4, 0x977da589
	s_mov_b32 s5, 0x3c833362
	;; [unrolled: 1-line block ×4, first 2 shown]
	v_fma_f64 v[11:12], v[4:5], s[6:7], s[4:5]
	s_mov_b32 s7, 0x3c545cb7
	s_mov_b32 s4, 0x721ebbb4
	;; [unrolled: 1-line block ×3, first 2 shown]
	v_fma_f64 v[15:16], v[4:5], v[11:12], s[6:7]
	s_mov_b32 s6, 0x3b39803f
	s_mov_b32 s7, 0xbc7abc9e
	v_add_f64 v[15:16], v[15:16], s[4:5]
	s_mov_b32 s4, 0x93f65eba
	s_mov_b32 s5, 0x3cdee6d8
	v_fma_f64 v[11:12], v[4:5], v[15:16], -v[11:12]
	v_add_f64 v[11:12], v[11:12], s[4:5]
	s_mov_b32 s4, 0xc297fbeb
	s_mov_b32 s5, 0xbd0a5022
	v_fma_f64 v[15:16], v[4:5], v[11:12], -v[15:16]
	;; [unrolled: 4-line block ×20, first 2 shown]
	v_add_f64 v[15:16], v[15:16], s[4:5]
	s_mov_b32 s4, 0x652b82fe
	s_mov_b32 s5, 0x3ff71547
	v_mul_f64 v[17:18], |v[8:9]|, s[4:5]
	s_mov_b32 s4, 0xf3dde3dd
	s_mov_b32 s5, 0x3f859961
	v_fma_f64 v[11:12], v[4:5], v[15:16], -v[11:12]
	v_rndne_f64_e32 v[17:18], v[17:18]
	v_add_f64 v[11:12], v[11:12], s[4:5]
	s_mov_b32 s4, 0xfefa39ef
	s_mov_b32 s5, 0xbfe62e42
	v_fma_f64 v[8:9], v[17:18], s[4:5], |v[8:9]|
	s_mov_b32 s4, 0xf121b6f0
	s_mov_b32 s5, 0xbf984e9e
	v_cvt_i32_f64_e32 v13, v[17:18]
	v_fma_f64 v[15:16], v[4:5], v[11:12], -v[15:16]
	v_fma_f64 v[8:9], v[17:18], s[6:7], v[8:9]
	s_mov_b32 s6, 0x6a5dcb37
	s_mov_b32 s7, 0x3e5ade15
	v_add_f64 v[15:16], v[15:16], s[4:5]
	s_mov_b32 s4, 0xfca7ab0c
	s_mov_b32 s5, 0x3e928af3
	v_fma_f64 v[19:20], v[8:9], s[6:7], s[4:5]
	s_mov_b32 s4, 0xcea8a32d
	s_mov_b32 s6, 0x623fde64
	;; [unrolled: 1-line block ×4, first 2 shown]
	v_fma_f64 v[11:12], v[4:5], v[15:16], -v[11:12]
	v_fma_f64 v[19:20], v[8:9], v[19:20], s[6:7]
	s_mov_b32 s6, 0x14761f6e
	s_mov_b32 s7, 0x3f2a01a0
	v_add_f64 v[11:12], v[11:12], s[4:5]
	s_mov_b32 s4, 0x7c89e6b0
	s_mov_b32 s5, 0x3efa0199
	v_fma_f64 v[19:20], v[8:9], v[19:20], s[4:5]
	s_mov_b32 s4, 0x342d06ea
	s_mov_b32 s5, 0xbfb84b70
	v_fma_f64 v[15:16], v[4:5], v[11:12], -v[15:16]
	v_fma_f64 v[19:20], v[8:9], v[19:20], s[6:7]
	s_mov_b32 s6, 0x11122322
	s_mov_b32 s7, 0x3f811111
	v_add_f64 v[15:16], v[15:16], s[4:5]
	s_mov_b32 s4, 0x1852b7b0
	s_mov_b32 s5, 0x3f56c16c
	v_fma_f64 v[19:20], v[8:9], v[19:20], s[4:5]
	s_mov_b32 s4, 0x77ac88c0
	s_mov_b32 s5, 0x3fc5f7ac
	;; [unrolled: 10-line block ×3, first 2 shown]
	v_fma_f64 v[15:16], v[4:5], v[11:12], -v[15:16]
	v_fma_f64 v[19:20], v[8:9], v[19:20], s[6:7]
	v_add_f64 v[15:16], v[15:16], s[4:5]
	s_mov_b32 s4, 11
	s_mov_b32 s5, 0x3fe00000
	v_fma_f64 v[19:20], v[8:9], v[19:20], s[4:5]
	s_mov_b32 s4, 0x9035a22a
	s_mov_b32 s5, 0x3fe5a84e
	v_fma_f64 v[4:5], v[4:5], v[15:16], -v[11:12]
	v_fma_f64 v[15:16], v[8:9], v[19:20], 1.0
	v_add_f64 v[4:5], v[4:5], s[4:5]
	v_fma_f64 v[8:9], v[8:9], v[15:16], 1.0
	v_add_f64 v[4:5], v[4:5], -v[11:12]
	v_ldexp_f64 v[8:9], v[8:9], v13
	v_mul_f64 v[4:5], v[4:5], 0.5
	v_mul_f64 v[4:5], v[8:9], v[4:5]
                                        ; implicit-def: $vgpr8_vgpr9
.LBB9_1423:
	s_andn2_saveexec_b32 s4, s0
	s_cbranch_execz .LBB9_1425
; %bb.1424:
	v_and_b32_e32 v5, 0x7fffffff, v9
	v_mov_b32_e32 v4, v8
	s_mov_b32 s6, 0x66119130
	s_mov_b32 s7, 0xbc5646da
	;; [unrolled: 1-line block ×4, first 2 shown]
	v_div_scale_f64 v[11:12], null, v[4:5], v[4:5], 0x40400000
	v_div_scale_f64 v[4:5], vcc_lo, 0x40400000, v[4:5], 0x40400000
	v_cmp_gt_f64_e64 s0, 0x10000000, |v[8:9]|
	v_rcp_f64_e32 v[15:16], v[11:12]
	v_cndmask_b32_e64 v13, 0, 0x100, s0
	v_ldexp_f64 v[23:24], |v[8:9]|, v13
	v_fma_f64 v[17:18], -v[11:12], v[15:16], 1.0
	v_rsq_f64_e32 v[25:26], v[23:24]
	v_fma_f64 v[15:16], v[15:16], v[17:18], v[15:16]
	v_mul_f64 v[27:28], v[23:24], v[25:26]
	v_mul_f64 v[25:26], v[25:26], 0.5
	v_fma_f64 v[17:18], -v[11:12], v[15:16], 1.0
	v_fma_f64 v[29:30], -v[25:26], v[27:28], 0.5
	v_fma_f64 v[15:16], v[15:16], v[17:18], v[15:16]
	v_fma_f64 v[27:28], v[27:28], v[29:30], v[27:28]
	;; [unrolled: 1-line block ×3, first 2 shown]
	v_mul_f64 v[17:18], v[4:5], v[15:16]
	v_fma_f64 v[29:30], -v[27:28], v[27:28], v[23:24]
	v_fma_f64 v[4:5], -v[11:12], v[17:18], v[4:5]
	v_div_fmas_f64 v[4:5], v[4:5], v[15:16], v[17:18]
	v_cmp_nlt_f64_e64 vcc_lo, 0x40900000, |v[8:9]|
	v_div_fixup_f64 v[4:5], v[4:5], |v[8:9]|, 0x40400000
	v_add_f64 v[4:5], v[4:5], -2.0
	v_fma_f64 v[11:12], v[4:5], s[14:15], s[6:7]
	s_mov_b32 s15, 0x3c60adb7
	s_mov_b32 s6, 0x12d98421
	;; [unrolled: 1-line block ×3, first 2 shown]
	v_fma_f64 v[15:16], v[4:5], v[11:12], s[14:15]
	s_mov_b32 s14, 0x6a5dcb37
	s_mov_b32 s15, 0x3e5ade15
	v_add_f64 v[15:16], v[15:16], s[6:7]
	s_mov_b32 s6, 0x76041cd
	s_mov_b32 s7, 0x3c83f3dd
	v_fma_f64 v[11:12], v[4:5], v[15:16], -v[11:12]
	v_add_f64 v[11:12], v[11:12], s[6:7]
	s_mov_b32 s6, 0xabd21fe4
	s_mov_b32 s7, 0xbcb4600b
	v_fma_f64 v[15:16], v[4:5], v[11:12], -v[15:16]
	;; [unrolled: 4-line block ×15, first 2 shown]
	v_add_f64 v[11:12], v[11:12], s[6:7]
	s_mov_b32 s6, 0x652b82fe
	s_mov_b32 s7, 0x3ff71547
	v_mul_f64 v[17:18], |v[8:9]|, s[6:7]
	s_mov_b32 s6, 0xa9225b87
	s_mov_b32 s7, 0x3e2d2c64
	v_fma_f64 v[15:16], v[4:5], v[11:12], -v[15:16]
	v_rndne_f64_e32 v[17:18], v[17:18]
	v_add_f64 v[15:16], v[15:16], s[6:7]
	s_mov_b32 s6, 0xfefa39ef
	s_mov_b32 s7, 0xbfe62e42
	v_fma_f64 v[19:20], v[17:18], s[6:7], |v[8:9]|
	s_mov_b32 s6, 0x3b39803f
	s_mov_b32 s7, 0xbc7abc9e
	v_cvt_i32_f64_e32 v13, v[17:18]
	v_cndmask_b32_e64 v8, 0, 0xffffff80, s0
	v_cmp_class_f64_e64 s0, v[23:24], 0x260
	v_fma_f64 v[11:12], v[4:5], v[15:16], -v[11:12]
	v_fma_f64 v[19:20], v[17:18], s[6:7], v[19:20]
	s_mov_b32 s6, 0x80d6d56d
	s_mov_b32 s7, 0x3e585692
	v_add_f64 v[11:12], v[11:12], s[6:7]
	s_mov_b32 s6, 0xfca7ab0c
	s_mov_b32 s7, 0x3e928af3
	v_fma_f64 v[21:22], v[19:20], s[14:15], s[6:7]
	s_mov_b32 s6, 0x623fde64
	s_mov_b32 s7, 0x3ec71dee
	v_fma_f64 v[15:16], v[4:5], v[11:12], -v[15:16]
	v_fma_f64 v[21:22], v[19:20], v[21:22], s[6:7]
	s_mov_b32 s6, 0xd9cd616e
	s_mov_b32 s7, 0x3e8b8007
	v_add_f64 v[15:16], v[15:16], s[6:7]
	s_mov_b32 s6, 0x7c89e6b0
	s_mov_b32 s7, 0x3efa0199
	v_fma_f64 v[21:22], v[19:20], v[21:22], s[6:7]
	s_mov_b32 s6, 0x14761f6e
	s_mov_b32 s7, 0x3f2a01a0
	;; [unrolled: 10-line block ×5, first 2 shown]
	v_fma_f64 v[4:5], v[4:5], v[11:12], -v[15:16]
	v_fma_f64 v[11:12], v[29:30], v[25:26], v[27:28]
	v_fma_f64 v[21:22], v[19:20], v[21:22], 1.0
	v_add_f64 v[4:5], v[4:5], s[6:7]
	v_fma_f64 v[27:28], -v[11:12], v[11:12], v[23:24]
	v_fma_f64 v[17:18], v[19:20], v[21:22], 1.0
	v_add_f64 v[4:5], v[4:5], -v[15:16]
	v_fma_f64 v[11:12], v[27:28], v[25:26], v[11:12]
	v_ldexp_f64 v[15:16], v[17:18], v13
	v_mul_f64 v[4:5], v[4:5], 0.5
	v_ldexp_f64 v[8:9], v[11:12], v8
	v_cndmask_b32_e32 v12, 0x7ff00000, v16, vcc_lo
	v_cndmask_b32_e32 v11, 0, v15, vcc_lo
	v_mul_f64 v[4:5], v[11:12], v[4:5]
	v_cndmask_b32_e64 v9, v9, v24, s0
	v_cndmask_b32_e64 v8, v8, v23, s0
	v_div_scale_f64 v[11:12], null, v[8:9], v[8:9], v[4:5]
	v_rcp_f64_e32 v[15:16], v[11:12]
	v_fma_f64 v[17:18], -v[11:12], v[15:16], 1.0
	v_fma_f64 v[15:16], v[15:16], v[17:18], v[15:16]
	v_fma_f64 v[17:18], -v[11:12], v[15:16], 1.0
	v_fma_f64 v[15:16], v[15:16], v[17:18], v[15:16]
	v_div_scale_f64 v[17:18], vcc_lo, v[4:5], v[8:9], v[4:5]
	v_mul_f64 v[19:20], v[17:18], v[15:16]
	v_fma_f64 v[11:12], -v[11:12], v[19:20], v[17:18]
	v_div_fmas_f64 v[11:12], v[11:12], v[15:16], v[19:20]
	v_div_fixup_f64 v[4:5], v[11:12], v[8:9], v[4:5]
.LBB9_1425:
	s_or_b32 exec_lo, exec_lo, s4
	v_add_co_u32 v7, s0, s10, v7
	v_add_co_ci_u32_e64 v8, null, s11, 0, s0
	s_cmp_lt_i32 s3, 11
	s_cbranch_scc1 .LBB9_1432
; %bb.1426:
	s_and_b32 s0, 0xffff, s3
	s_mov_b32 s5, 0
	s_cmp_gt_i32 s0, 25
	s_cbranch_scc0 .LBB9_1434
; %bb.1427:
	s_cmp_gt_i32 s0, 28
	s_cbranch_scc0 .LBB9_1435
; %bb.1428:
	;; [unrolled: 3-line block ×4, first 2 shown]
	s_cmp_eq_u32 s0, 46
	s_mov_b32 s7, 0
	s_cbranch_scc0 .LBB9_1439
; %bb.1431:
	global_load_dword v9, v[7:8], off
	s_mov_b32 s4, 0
	s_mov_b32 s6, -1
	s_waitcnt vmcnt(0)
	v_lshlrev_b32_e32 v9, 16, v9
	v_cvt_f64_f32_e32 v[11:12], v9
	s_branch .LBB9_1441
.LBB9_1432:
	s_mov_b32 s6, 0
                                        ; implicit-def: $vgpr11_vgpr12
	s_cbranch_execnz .LBB9_1507
.LBB9_1433:
	s_andn2_b32 vcc_lo, exec_lo, s6
	s_cbranch_vccnz .LBB9_1772
	s_branch .LBB9_1555
.LBB9_1434:
	s_mov_b32 s7, -1
	s_mov_b32 s6, 0
	s_mov_b32 s4, 0
                                        ; implicit-def: $vgpr11_vgpr12
	s_branch .LBB9_1472
.LBB9_1435:
	s_mov_b32 s7, -1
	s_mov_b32 s6, 0
	s_mov_b32 s4, 0
                                        ; implicit-def: $vgpr11_vgpr12
	s_branch .LBB9_1451
.LBB9_1436:
	s_mov_b32 s7, -1
	s_mov_b32 s6, 0
	s_mov_b32 s4, 0
                                        ; implicit-def: $vgpr11_vgpr12
	s_branch .LBB9_1446
.LBB9_1437:
	s_or_b32 s1, s1, exec_lo
	s_trap 2
	s_cbranch_execz .LBB9_1372
	s_branch .LBB9_1373
.LBB9_1438:
	s_mov_b32 s7, -1
	s_mov_b32 s6, 0
	s_mov_b32 s4, 0
	s_branch .LBB9_1440
.LBB9_1439:
	s_mov_b32 s4, -1
	s_mov_b32 s6, 0
.LBB9_1440:
                                        ; implicit-def: $vgpr11_vgpr12
.LBB9_1441:
	s_and_b32 vcc_lo, exec_lo, s7
	s_cbranch_vccz .LBB9_1445
; %bb.1442:
	s_cmp_eq_u32 s0, 44
	s_cbranch_scc0 .LBB9_1444
; %bb.1443:
	global_load_ubyte v9, v[7:8], off
	s_mov_b32 s4, 0
	s_mov_b32 s6, -1
	s_waitcnt vmcnt(0)
	v_lshlrev_b32_e32 v11, 23, v9
	v_cmp_ne_u32_e32 vcc_lo, 0xff, v9
	v_cvt_f64_f32_e32 v[11:12], v11
	v_cndmask_b32_e32 v11, 0x20000000, v11, vcc_lo
	v_cndmask_b32_e32 v12, 0x7ff80000, v12, vcc_lo
	v_cmp_ne_u32_e32 vcc_lo, 0, v9
	v_cndmask_b32_e32 v12, 0x38000000, v12, vcc_lo
	v_cndmask_b32_e32 v11, 0, v11, vcc_lo
	s_branch .LBB9_1445
.LBB9_1444:
	s_mov_b32 s4, -1
                                        ; implicit-def: $vgpr11_vgpr12
.LBB9_1445:
	s_mov_b32 s7, 0
.LBB9_1446:
	s_and_b32 vcc_lo, exec_lo, s7
	s_cbranch_vccz .LBB9_1450
; %bb.1447:
	s_cmp_eq_u32 s0, 29
	s_cbranch_scc0 .LBB9_1449
; %bb.1448:
	global_load_dwordx2 v[11:12], v[7:8], off
	s_mov_b32 s4, 0
	s_mov_b32 s6, -1
	s_mov_b32 s7, 0
	s_waitcnt vmcnt(0)
	v_cvt_f64_u32_e32 v[12:13], v12
	v_cvt_f64_u32_e32 v[15:16], v11
	v_ldexp_f64 v[12:13], v[12:13], 32
	v_add_f64 v[11:12], v[12:13], v[15:16]
	s_branch .LBB9_1451
.LBB9_1449:
	s_mov_b32 s4, -1
                                        ; implicit-def: $vgpr11_vgpr12
.LBB9_1450:
	s_mov_b32 s7, 0
.LBB9_1451:
	s_and_b32 vcc_lo, exec_lo, s7
	s_cbranch_vccz .LBB9_1471
; %bb.1452:
	s_cmp_lt_i32 s0, 27
	s_cbranch_scc1 .LBB9_1455
; %bb.1453:
	s_cmp_gt_i32 s0, 27
	s_cbranch_scc0 .LBB9_1456
; %bb.1454:
	global_load_dword v9, v[7:8], off
	s_mov_b32 s6, 0
	s_waitcnt vmcnt(0)
	v_cvt_f64_u32_e32 v[11:12], v9
	s_branch .LBB9_1457
.LBB9_1455:
	s_mov_b32 s6, -1
                                        ; implicit-def: $vgpr11_vgpr12
	s_branch .LBB9_1460
.LBB9_1456:
	s_mov_b32 s6, -1
                                        ; implicit-def: $vgpr11_vgpr12
.LBB9_1457:
	s_andn2_b32 vcc_lo, exec_lo, s6
	s_cbranch_vccnz .LBB9_1459
; %bb.1458:
	global_load_ushort v9, v[7:8], off
	s_waitcnt vmcnt(0)
	v_cvt_f64_u32_e32 v[11:12], v9
.LBB9_1459:
	s_mov_b32 s6, 0
.LBB9_1460:
	s_andn2_b32 vcc_lo, exec_lo, s6
	s_cbranch_vccnz .LBB9_1470
; %bb.1461:
	global_load_ubyte v9, v[7:8], off
	s_mov_b32 s6, 0
	s_mov_b32 s7, exec_lo
	s_waitcnt vmcnt(0)
	v_cmpx_lt_i16_e32 0x7f, v9
	s_xor_b32 s7, exec_lo, s7
	s_cbranch_execz .LBB9_1465
; %bb.1462:
	s_mov_b32 s6, -1
	s_mov_b32 s14, exec_lo
	v_cmpx_eq_u16_e32 0x80, v9
; %bb.1463:
	s_xor_b32 s6, exec_lo, -1
; %bb.1464:
	s_or_b32 exec_lo, exec_lo, s14
	s_and_b32 s6, s6, exec_lo
.LBB9_1465:
	s_or_saveexec_b32 s7, s7
	v_bfrev_b32_e32 v11, 4
	v_mov_b32_e32 v12, 0x7ff80000
	s_xor_b32 exec_lo, exec_lo, s7
; %bb.1466:
	v_cmp_ne_u16_e32 vcc_lo, 0, v9
	v_mov_b32_e32 v11, 0
	v_mov_b32_e32 v12, 0
	s_andn2_b32 s6, s6, exec_lo
	s_and_b32 s14, vcc_lo, exec_lo
	s_or_b32 s6, s6, s14
; %bb.1467:
	s_or_b32 exec_lo, exec_lo, s7
	s_and_saveexec_b32 s7, s6
	s_cbranch_execz .LBB9_1469
; %bb.1468:
	v_and_b32_e32 v11, 0xffff, v9
	v_lshlrev_b32_e32 v9, 24, v9
	v_and_b32_e32 v12, 7, v11
	v_bfe_u32 v16, v11, 3, 4
	v_and_b32_e32 v9, 0x80000000, v9
	v_ffbh_u32_e32 v13, v12
	v_cmp_eq_u32_e32 vcc_lo, 0, v16
	v_min_u32_e32 v13, 32, v13
	v_subrev_nc_u32_e32 v15, 28, v13
	v_sub_nc_u32_e32 v13, 29, v13
	v_lshlrev_b32_e32 v11, v15, v11
	v_cndmask_b32_e32 v13, v16, v13, vcc_lo
	v_and_b32_e32 v11, 7, v11
	v_cndmask_b32_e32 v11, v12, v11, vcc_lo
	v_lshl_add_u32 v12, v13, 23, 0x3b800000
	v_lshlrev_b32_e32 v11, 20, v11
	v_or3_b32 v9, v9, v12, v11
	v_cvt_f64_f32_e32 v[11:12], v9
.LBB9_1469:
	s_or_b32 exec_lo, exec_lo, s7
.LBB9_1470:
	s_mov_b32 s6, -1
.LBB9_1471:
	s_mov_b32 s7, 0
.LBB9_1472:
	s_and_b32 vcc_lo, exec_lo, s7
	s_cbranch_vccz .LBB9_1503
; %bb.1473:
	s_cmp_gt_i32 s0, 22
	s_cbranch_scc0 .LBB9_1485
; %bb.1474:
	s_cmp_lt_i32 s0, 24
	s_cbranch_scc1 .LBB9_1486
; %bb.1475:
	s_cmp_gt_i32 s0, 24
	s_cbranch_scc0 .LBB9_1487
; %bb.1476:
	global_load_ubyte v9, v[7:8], off
	s_mov_b32 s6, exec_lo
	s_waitcnt vmcnt(0)
	v_cmpx_lt_i16_e32 0x7f, v9
	s_xor_b32 s6, exec_lo, s6
	s_cbranch_execz .LBB9_1480
; %bb.1477:
	s_mov_b32 s5, -1
	s_mov_b32 s7, exec_lo
	v_cmpx_eq_u16_e32 0x80, v9
; %bb.1478:
	s_xor_b32 s5, exec_lo, -1
; %bb.1479:
	s_or_b32 exec_lo, exec_lo, s7
	s_and_b32 s5, s5, exec_lo
.LBB9_1480:
	s_or_saveexec_b32 s6, s6
	v_bfrev_b32_e32 v11, 4
	v_mov_b32_e32 v12, 0x7ff80000
	s_xor_b32 exec_lo, exec_lo, s6
; %bb.1481:
	v_cmp_ne_u16_e32 vcc_lo, 0, v9
	v_mov_b32_e32 v11, 0
	v_mov_b32_e32 v12, 0
	s_andn2_b32 s5, s5, exec_lo
	s_and_b32 s7, vcc_lo, exec_lo
	s_or_b32 s5, s5, s7
; %bb.1482:
	s_or_b32 exec_lo, exec_lo, s6
	s_and_saveexec_b32 s6, s5
	s_cbranch_execz .LBB9_1484
; %bb.1483:
	v_and_b32_e32 v11, 0xffff, v9
	v_lshlrev_b32_e32 v9, 24, v9
	v_and_b32_e32 v12, 3, v11
	v_bfe_u32 v16, v11, 2, 5
	v_and_b32_e32 v9, 0x80000000, v9
	v_ffbh_u32_e32 v13, v12
	v_cmp_eq_u32_e32 vcc_lo, 0, v16
	v_min_u32_e32 v13, 32, v13
	v_subrev_nc_u32_e32 v15, 29, v13
	v_sub_nc_u32_e32 v13, 30, v13
	v_lshlrev_b32_e32 v11, v15, v11
	v_cndmask_b32_e32 v13, v16, v13, vcc_lo
	v_and_b32_e32 v11, 3, v11
	v_cndmask_b32_e32 v11, v12, v11, vcc_lo
	v_lshl_add_u32 v12, v13, 23, 0x37800000
	v_lshlrev_b32_e32 v11, 21, v11
	v_or3_b32 v9, v9, v12, v11
	v_cvt_f64_f32_e32 v[11:12], v9
.LBB9_1484:
	s_or_b32 exec_lo, exec_lo, s6
	s_mov_b32 s5, 0
	s_branch .LBB9_1488
.LBB9_1485:
	s_mov_b32 s5, -1
                                        ; implicit-def: $vgpr11_vgpr12
	s_branch .LBB9_1494
.LBB9_1486:
	s_mov_b32 s5, -1
                                        ; implicit-def: $vgpr11_vgpr12
	s_branch .LBB9_1491
.LBB9_1487:
	s_mov_b32 s5, -1
                                        ; implicit-def: $vgpr11_vgpr12
.LBB9_1488:
	s_and_b32 vcc_lo, exec_lo, s5
	s_cbranch_vccz .LBB9_1490
; %bb.1489:
	global_load_ubyte v9, v[7:8], off
	s_waitcnt vmcnt(0)
	v_lshlrev_b32_e32 v9, 24, v9
	v_and_b32_e32 v11, 0x7f000000, v9
	v_ffbh_u32_e32 v12, v11
	v_add_nc_u32_e32 v15, 0x1000000, v11
	v_cmp_ne_u32_e32 vcc_lo, 0, v11
	v_min_u32_e32 v12, 32, v12
	v_sub_nc_u32_e64 v12, v12, 4 clamp
	v_lshlrev_b32_e32 v13, v12, v11
	v_lshlrev_b32_e32 v12, 23, v12
	v_lshrrev_b32_e32 v13, 4, v13
	v_sub_nc_u32_e32 v12, v13, v12
	v_ashrrev_i32_e32 v13, 8, v15
	v_add_nc_u32_e32 v12, 0x3c000000, v12
	v_and_or_b32 v12, 0x7f800000, v13, v12
	v_cndmask_b32_e32 v11, 0, v12, vcc_lo
	v_and_or_b32 v9, 0x80000000, v9, v11
	v_cvt_f64_f32_e32 v[11:12], v9
.LBB9_1490:
	s_mov_b32 s5, 0
.LBB9_1491:
	s_andn2_b32 vcc_lo, exec_lo, s5
	s_cbranch_vccnz .LBB9_1493
; %bb.1492:
	global_load_ubyte v9, v[7:8], off
	s_waitcnt vmcnt(0)
	v_lshlrev_b32_e32 v11, 25, v9
	v_lshlrev_b16 v9, 8, v9
	v_lshrrev_b32_e32 v12, 4, v11
	v_and_or_b32 v13, 0x7f00, v9, 0.5
	v_cmp_gt_u32_e32 vcc_lo, 0x8000000, v11
	v_bfe_i32 v9, v9, 0, 16
	v_or_b32_e32 v12, 0x70000000, v12
	v_add_f32_e32 v13, -0.5, v13
	v_mul_f32_e32 v12, 0x7800000, v12
	v_cndmask_b32_e32 v11, v12, v13, vcc_lo
	v_and_or_b32 v9, 0x80000000, v9, v11
	v_cvt_f64_f32_e32 v[11:12], v9
.LBB9_1493:
	s_mov_b32 s5, 0
	s_mov_b32 s6, -1
.LBB9_1494:
	s_andn2_b32 vcc_lo, exec_lo, s5
	s_mov_b32 s5, 0
	s_cbranch_vccnz .LBB9_1503
; %bb.1495:
	s_cmp_gt_i32 s0, 14
	s_cbranch_scc0 .LBB9_1498
; %bb.1496:
	s_cmp_eq_u32 s0, 15
	s_cbranch_scc0 .LBB9_1499
; %bb.1497:
	global_load_ushort v9, v[7:8], off
	s_mov_b32 s4, 0
	s_mov_b32 s6, -1
	s_waitcnt vmcnt(0)
	v_lshlrev_b32_e32 v9, 16, v9
	v_cvt_f64_f32_e32 v[11:12], v9
	s_branch .LBB9_1501
.LBB9_1498:
	s_mov_b32 s5, -1
	s_branch .LBB9_1500
.LBB9_1499:
	s_mov_b32 s4, -1
.LBB9_1500:
                                        ; implicit-def: $vgpr11_vgpr12
.LBB9_1501:
	s_and_b32 vcc_lo, exec_lo, s5
	s_mov_b32 s5, 0
	s_cbranch_vccz .LBB9_1503
; %bb.1502:
	s_cmp_lg_u32 s0, 11
	s_mov_b32 s5, -1
	s_cselect_b32 s4, -1, 0
.LBB9_1503:
	s_and_b32 vcc_lo, exec_lo, s4
	s_cbranch_vccnz .LBB9_1570
; %bb.1504:
	s_andn2_b32 vcc_lo, exec_lo, s5
	s_cbranch_vccnz .LBB9_1506
.LBB9_1505:
	global_load_ubyte v9, v[7:8], off
	v_mov_b32_e32 v11, 0
	s_mov_b32 s6, -1
	s_waitcnt vmcnt(0)
	v_cmp_ne_u16_e32 vcc_lo, 0, v9
	v_cndmask_b32_e64 v12, 0, 0x3ff00000, vcc_lo
.LBB9_1506:
	s_branch .LBB9_1433
.LBB9_1507:
	s_and_b32 s0, 0xffff, s3
	s_cmp_lt_i32 s0, 5
	s_cbranch_scc1 .LBB9_1512
; %bb.1508:
	s_cmp_lt_i32 s0, 8
	s_cbranch_scc1 .LBB9_1513
; %bb.1509:
	;; [unrolled: 3-line block ×3, first 2 shown]
	s_cmp_gt_i32 s0, 9
	s_cbranch_scc0 .LBB9_1515
; %bb.1511:
	global_load_dwordx2 v[11:12], v[7:8], off
	s_mov_b32 s4, 0
	s_branch .LBB9_1516
.LBB9_1512:
	s_mov_b32 s4, -1
                                        ; implicit-def: $vgpr11_vgpr12
	s_branch .LBB9_1534
.LBB9_1513:
	s_mov_b32 s4, -1
                                        ; implicit-def: $vgpr11_vgpr12
	s_branch .LBB9_1522
.LBB9_1514:
	s_mov_b32 s4, -1
                                        ; implicit-def: $vgpr11_vgpr12
	s_branch .LBB9_1519
.LBB9_1515:
	s_mov_b32 s4, -1
                                        ; implicit-def: $vgpr11_vgpr12
.LBB9_1516:
	s_andn2_b32 vcc_lo, exec_lo, s4
	s_cbranch_vccnz .LBB9_1518
; %bb.1517:
	global_load_dword v9, v[7:8], off
	s_waitcnt vmcnt(0)
	v_cvt_f64_f32_e32 v[11:12], v9
.LBB9_1518:
	s_mov_b32 s4, 0
.LBB9_1519:
	s_andn2_b32 vcc_lo, exec_lo, s4
	s_cbranch_vccnz .LBB9_1521
; %bb.1520:
	global_load_dword v9, v[7:8], off
	s_waitcnt vmcnt(0)
	v_cvt_f32_f16_e32 v9, v9
	v_cvt_f64_f32_e32 v[11:12], v9
.LBB9_1521:
	s_mov_b32 s4, 0
.LBB9_1522:
	s_andn2_b32 vcc_lo, exec_lo, s4
	s_cbranch_vccnz .LBB9_1533
; %bb.1523:
	s_cmp_lt_i32 s0, 6
	s_cbranch_scc1 .LBB9_1526
; %bb.1524:
	s_cmp_gt_i32 s0, 6
	s_cbranch_scc0 .LBB9_1527
; %bb.1525:
	global_load_dwordx2 v[11:12], v[7:8], off
	s_mov_b32 s4, 0
	s_branch .LBB9_1528
.LBB9_1526:
	s_mov_b32 s4, -1
                                        ; implicit-def: $vgpr11_vgpr12
	s_branch .LBB9_1531
.LBB9_1527:
	s_mov_b32 s4, -1
                                        ; implicit-def: $vgpr11_vgpr12
.LBB9_1528:
	s_andn2_b32 vcc_lo, exec_lo, s4
	s_cbranch_vccnz .LBB9_1530
; %bb.1529:
	global_load_dword v9, v[7:8], off
	s_waitcnt vmcnt(0)
	v_cvt_f64_f32_e32 v[11:12], v9
.LBB9_1530:
	s_mov_b32 s4, 0
.LBB9_1531:
	s_andn2_b32 vcc_lo, exec_lo, s4
	s_cbranch_vccnz .LBB9_1533
; %bb.1532:
	global_load_ushort v9, v[7:8], off
	s_waitcnt vmcnt(0)
	v_cvt_f32_f16_e32 v9, v9
	v_cvt_f64_f32_e32 v[11:12], v9
.LBB9_1533:
	s_mov_b32 s4, 0
.LBB9_1534:
	s_andn2_b32 vcc_lo, exec_lo, s4
	s_cbranch_vccnz .LBB9_1554
; %bb.1535:
	s_cmp_lt_i32 s0, 2
	s_cbranch_scc1 .LBB9_1539
; %bb.1536:
	s_cmp_lt_i32 s0, 3
	s_cbranch_scc1 .LBB9_1540
; %bb.1537:
	s_cmp_gt_i32 s0, 3
	s_cbranch_scc0 .LBB9_1541
; %bb.1538:
	global_load_dwordx2 v[11:12], v[7:8], off
	s_mov_b32 s4, 0
	s_waitcnt vmcnt(0)
	v_cvt_f64_i32_e32 v[12:13], v12
	v_cvt_f64_u32_e32 v[15:16], v11
	v_ldexp_f64 v[12:13], v[12:13], 32
	v_add_f64 v[11:12], v[12:13], v[15:16]
	s_branch .LBB9_1542
.LBB9_1539:
	s_mov_b32 s4, -1
                                        ; implicit-def: $vgpr11_vgpr12
	s_branch .LBB9_1548
.LBB9_1540:
	s_mov_b32 s4, -1
                                        ; implicit-def: $vgpr11_vgpr12
	s_branch .LBB9_1545
.LBB9_1541:
	s_mov_b32 s4, -1
                                        ; implicit-def: $vgpr11_vgpr12
.LBB9_1542:
	s_andn2_b32 vcc_lo, exec_lo, s4
	s_cbranch_vccnz .LBB9_1544
; %bb.1543:
	global_load_dword v9, v[7:8], off
	s_waitcnt vmcnt(0)
	v_cvt_f64_i32_e32 v[11:12], v9
.LBB9_1544:
	s_mov_b32 s4, 0
.LBB9_1545:
	s_andn2_b32 vcc_lo, exec_lo, s4
	s_cbranch_vccnz .LBB9_1547
; %bb.1546:
	global_load_sshort v9, v[7:8], off
	s_waitcnt vmcnt(0)
	v_cvt_f64_i32_e32 v[11:12], v9
.LBB9_1547:
	s_mov_b32 s4, 0
.LBB9_1548:
	s_andn2_b32 vcc_lo, exec_lo, s4
	s_cbranch_vccnz .LBB9_1554
; %bb.1549:
	s_cmp_gt_i32 s0, 0
	s_mov_b32 s0, 0
	s_cbranch_scc0 .LBB9_1551
; %bb.1550:
	global_load_sbyte v9, v[7:8], off
	s_waitcnt vmcnt(0)
	v_cvt_f64_i32_e32 v[11:12], v9
	s_branch .LBB9_1552
.LBB9_1551:
	s_mov_b32 s0, -1
                                        ; implicit-def: $vgpr11_vgpr12
.LBB9_1552:
	s_andn2_b32 vcc_lo, exec_lo, s0
	s_cbranch_vccnz .LBB9_1554
; %bb.1553:
	global_load_ubyte v7, v[7:8], off
	s_waitcnt vmcnt(0)
	v_cvt_f64_u32_e32 v[11:12], v7
.LBB9_1554:
.LBB9_1555:
	s_waitcnt vmcnt(0)
	v_cmp_ge_f64_e64 s0, 0x40200000, |v[11:12]|
                                        ; implicit-def: $vgpr8_vgpr9
	s_and_saveexec_b32 s4, s0
	s_xor_b32 s0, exec_lo, s4
	s_cbranch_execz .LBB9_1557
; %bb.1556:
	v_fma_f64 v[7:8], |v[11:12]|, 0.5, -2.0
	s_mov_b32 s4, 0x977da589
	s_mov_b32 s5, 0x3c833362
	s_mov_b32 s7, 0xbc545cb7
	s_mov_b32 s6, 0x2134d0ef
	v_fma_f64 v[15:16], v[7:8], s[6:7], s[4:5]
	s_mov_b32 s7, 0x3c545cb7
	s_mov_b32 s4, 0x721ebbb4
	;; [unrolled: 1-line block ×3, first 2 shown]
	v_fma_f64 v[17:18], v[7:8], v[15:16], s[6:7]
	s_mov_b32 s6, 0x3b39803f
	s_mov_b32 s7, 0xbc7abc9e
	v_add_f64 v[17:18], v[17:18], s[4:5]
	s_mov_b32 s4, 0x93f65eba
	s_mov_b32 s5, 0x3cdee6d8
	v_fma_f64 v[15:16], v[7:8], v[17:18], -v[15:16]
	v_add_f64 v[15:16], v[15:16], s[4:5]
	s_mov_b32 s4, 0xc297fbeb
	s_mov_b32 s5, 0xbd0a5022
	v_fma_f64 v[17:18], v[7:8], v[15:16], -v[17:18]
	;; [unrolled: 4-line block ×20, first 2 shown]
	v_add_f64 v[17:18], v[17:18], s[4:5]
	s_mov_b32 s4, 0x652b82fe
	s_mov_b32 s5, 0x3ff71547
	v_mul_f64 v[19:20], |v[11:12]|, s[4:5]
	s_mov_b32 s4, 0xf3dde3dd
	s_mov_b32 s5, 0x3f859961
	v_fma_f64 v[15:16], v[7:8], v[17:18], -v[15:16]
	v_rndne_f64_e32 v[19:20], v[19:20]
	v_add_f64 v[15:16], v[15:16], s[4:5]
	s_mov_b32 s4, 0xfefa39ef
	s_mov_b32 s5, 0xbfe62e42
	v_fma_f64 v[11:12], v[19:20], s[4:5], |v[11:12]|
	s_mov_b32 s4, 0xf121b6f0
	s_mov_b32 s5, 0xbf984e9e
	v_cvt_i32_f64_e32 v9, v[19:20]
	v_fma_f64 v[17:18], v[7:8], v[15:16], -v[17:18]
	v_fma_f64 v[11:12], v[19:20], s[6:7], v[11:12]
	s_mov_b32 s6, 0x6a5dcb37
	s_mov_b32 s7, 0x3e5ade15
	v_add_f64 v[17:18], v[17:18], s[4:5]
	s_mov_b32 s4, 0xfca7ab0c
	s_mov_b32 s5, 0x3e928af3
	v_fma_f64 v[21:22], v[11:12], s[6:7], s[4:5]
	s_mov_b32 s4, 0xcea8a32d
	s_mov_b32 s6, 0x623fde64
	;; [unrolled: 1-line block ×4, first 2 shown]
	v_fma_f64 v[15:16], v[7:8], v[17:18], -v[15:16]
	v_fma_f64 v[21:22], v[11:12], v[21:22], s[6:7]
	s_mov_b32 s6, 0x14761f6e
	s_mov_b32 s7, 0x3f2a01a0
	v_add_f64 v[15:16], v[15:16], s[4:5]
	s_mov_b32 s4, 0x7c89e6b0
	s_mov_b32 s5, 0x3efa0199
	v_fma_f64 v[21:22], v[11:12], v[21:22], s[4:5]
	s_mov_b32 s4, 0x342d06ea
	s_mov_b32 s5, 0xbfb84b70
	v_fma_f64 v[17:18], v[7:8], v[15:16], -v[17:18]
	v_fma_f64 v[21:22], v[11:12], v[21:22], s[6:7]
	s_mov_b32 s6, 0x11122322
	s_mov_b32 s7, 0x3f811111
	v_add_f64 v[17:18], v[17:18], s[4:5]
	s_mov_b32 s4, 0x1852b7b0
	s_mov_b32 s5, 0x3f56c16c
	v_fma_f64 v[21:22], v[11:12], v[21:22], s[4:5]
	s_mov_b32 s4, 0x77ac88c0
	s_mov_b32 s5, 0x3fc5f7ac
	;; [unrolled: 10-line block ×3, first 2 shown]
	v_fma_f64 v[17:18], v[7:8], v[15:16], -v[17:18]
	v_fma_f64 v[21:22], v[11:12], v[21:22], s[6:7]
	v_add_f64 v[17:18], v[17:18], s[4:5]
	s_mov_b32 s4, 11
	s_mov_b32 s5, 0x3fe00000
	v_fma_f64 v[21:22], v[11:12], v[21:22], s[4:5]
	s_mov_b32 s4, 0x9035a22a
	s_mov_b32 s5, 0x3fe5a84e
	v_fma_f64 v[7:8], v[7:8], v[17:18], -v[15:16]
	v_fma_f64 v[17:18], v[11:12], v[21:22], 1.0
	v_add_f64 v[7:8], v[7:8], s[4:5]
	v_fma_f64 v[11:12], v[11:12], v[17:18], 1.0
	v_add_f64 v[7:8], v[7:8], -v[15:16]
	v_ldexp_f64 v[11:12], v[11:12], v9
	v_mul_f64 v[7:8], v[7:8], 0.5
	v_mul_f64 v[8:9], v[11:12], v[7:8]
                                        ; implicit-def: $vgpr11_vgpr12
.LBB9_1557:
	s_andn2_saveexec_b32 s4, s0
	s_cbranch_execz .LBB9_1559
; %bb.1558:
	v_and_b32_e32 v8, 0x7fffffff, v12
	v_mov_b32_e32 v7, v11
	s_mov_b32 s6, 0x66119130
	s_mov_b32 s7, 0xbc5646da
	;; [unrolled: 1-line block ×4, first 2 shown]
	v_div_scale_f64 v[15:16], null, v[7:8], v[7:8], 0x40400000
	v_div_scale_f64 v[7:8], vcc_lo, 0x40400000, v[7:8], 0x40400000
	v_cmp_gt_f64_e64 s0, 0x10000000, |v[11:12]|
	v_rcp_f64_e32 v[17:18], v[15:16]
	v_cndmask_b32_e64 v9, 0, 0x100, s0
	v_ldexp_f64 v[25:26], |v[11:12]|, v9
	v_fma_f64 v[19:20], -v[15:16], v[17:18], 1.0
	v_rsq_f64_e32 v[27:28], v[25:26]
	v_fma_f64 v[17:18], v[17:18], v[19:20], v[17:18]
	v_mul_f64 v[29:30], v[25:26], v[27:28]
	v_mul_f64 v[27:28], v[27:28], 0.5
	v_fma_f64 v[19:20], -v[15:16], v[17:18], 1.0
	v_fma_f64 v[31:32], -v[27:28], v[29:30], 0.5
	v_fma_f64 v[17:18], v[17:18], v[19:20], v[17:18]
	v_fma_f64 v[29:30], v[29:30], v[31:32], v[29:30]
	;; [unrolled: 1-line block ×3, first 2 shown]
	v_mul_f64 v[19:20], v[7:8], v[17:18]
	v_fma_f64 v[31:32], -v[29:30], v[29:30], v[25:26]
	v_fma_f64 v[7:8], -v[15:16], v[19:20], v[7:8]
	v_div_fmas_f64 v[7:8], v[7:8], v[17:18], v[19:20]
	v_cmp_nlt_f64_e64 vcc_lo, 0x40900000, |v[11:12]|
	v_div_fixup_f64 v[7:8], v[7:8], |v[11:12]|, 0x40400000
	v_add_f64 v[7:8], v[7:8], -2.0
	v_fma_f64 v[15:16], v[7:8], s[14:15], s[6:7]
	s_mov_b32 s15, 0x3c60adb7
	s_mov_b32 s6, 0x12d98421
	;; [unrolled: 1-line block ×3, first 2 shown]
	v_fma_f64 v[17:18], v[7:8], v[15:16], s[14:15]
	s_mov_b32 s14, 0x6a5dcb37
	s_mov_b32 s15, 0x3e5ade15
	v_add_f64 v[17:18], v[17:18], s[6:7]
	s_mov_b32 s6, 0x76041cd
	s_mov_b32 s7, 0x3c83f3dd
	v_fma_f64 v[15:16], v[7:8], v[17:18], -v[15:16]
	v_add_f64 v[15:16], v[15:16], s[6:7]
	s_mov_b32 s6, 0xabd21fe4
	s_mov_b32 s7, 0xbcb4600b
	v_fma_f64 v[17:18], v[7:8], v[15:16], -v[17:18]
	;; [unrolled: 4-line block ×15, first 2 shown]
	v_add_f64 v[15:16], v[15:16], s[6:7]
	s_mov_b32 s6, 0x652b82fe
	s_mov_b32 s7, 0x3ff71547
	v_mul_f64 v[19:20], |v[11:12]|, s[6:7]
	s_mov_b32 s6, 0xa9225b87
	s_mov_b32 s7, 0x3e2d2c64
	v_fma_f64 v[17:18], v[7:8], v[15:16], -v[17:18]
	v_rndne_f64_e32 v[19:20], v[19:20]
	v_add_f64 v[17:18], v[17:18], s[6:7]
	s_mov_b32 s6, 0xfefa39ef
	s_mov_b32 s7, 0xbfe62e42
	v_fma_f64 v[21:22], v[19:20], s[6:7], |v[11:12]|
	s_mov_b32 s6, 0x3b39803f
	s_mov_b32 s7, 0xbc7abc9e
	v_cvt_i32_f64_e32 v9, v[19:20]
	v_fma_f64 v[15:16], v[7:8], v[17:18], -v[15:16]
	v_fma_f64 v[21:22], v[19:20], s[6:7], v[21:22]
	s_mov_b32 s6, 0x80d6d56d
	s_mov_b32 s7, 0x3e585692
	v_add_f64 v[15:16], v[15:16], s[6:7]
	s_mov_b32 s6, 0xfca7ab0c
	s_mov_b32 s7, 0x3e928af3
	v_fma_f64 v[23:24], v[21:22], s[14:15], s[6:7]
	s_mov_b32 s6, 0x623fde64
	s_mov_b32 s7, 0x3ec71dee
	v_fma_f64 v[17:18], v[7:8], v[15:16], -v[17:18]
	v_fma_f64 v[23:24], v[21:22], v[23:24], s[6:7]
	s_mov_b32 s6, 0xd9cd616e
	s_mov_b32 s7, 0x3e8b8007
	v_add_f64 v[17:18], v[17:18], s[6:7]
	s_mov_b32 s6, 0x7c89e6b0
	s_mov_b32 s7, 0x3efa0199
	v_fma_f64 v[23:24], v[21:22], v[23:24], s[6:7]
	s_mov_b32 s6, 0x14761f6e
	s_mov_b32 s7, 0x3f2a01a0
	;; [unrolled: 10-line block ×5, first 2 shown]
	v_fma_f64 v[7:8], v[7:8], v[15:16], -v[17:18]
	v_fma_f64 v[15:16], v[31:32], v[27:28], v[29:30]
	v_fma_f64 v[23:24], v[21:22], v[23:24], 1.0
	v_add_f64 v[7:8], v[7:8], s[6:7]
	v_fma_f64 v[29:30], -v[15:16], v[15:16], v[25:26]
	v_fma_f64 v[19:20], v[21:22], v[23:24], 1.0
	v_add_f64 v[7:8], v[7:8], -v[17:18]
	v_fma_f64 v[15:16], v[29:30], v[27:28], v[15:16]
	v_ldexp_f64 v[17:18], v[19:20], v9
	v_cndmask_b32_e64 v9, 0, 0xffffff80, s0
	v_cmp_class_f64_e64 s0, v[25:26], 0x260
	v_mul_f64 v[7:8], v[7:8], 0.5
	v_ldexp_f64 v[11:12], v[15:16], v9
	v_cndmask_b32_e32 v16, 0x7ff00000, v18, vcc_lo
	v_cndmask_b32_e32 v15, 0, v17, vcc_lo
	v_mul_f64 v[7:8], v[15:16], v[7:8]
	v_cndmask_b32_e64 v12, v12, v26, s0
	v_cndmask_b32_e64 v11, v11, v25, s0
	v_div_scale_f64 v[15:16], null, v[11:12], v[11:12], v[7:8]
	v_rcp_f64_e32 v[17:18], v[15:16]
	v_fma_f64 v[19:20], -v[15:16], v[17:18], 1.0
	v_fma_f64 v[17:18], v[17:18], v[19:20], v[17:18]
	v_fma_f64 v[19:20], -v[15:16], v[17:18], 1.0
	v_fma_f64 v[17:18], v[17:18], v[19:20], v[17:18]
	v_div_scale_f64 v[19:20], vcc_lo, v[7:8], v[11:12], v[7:8]
	v_mul_f64 v[21:22], v[19:20], v[17:18]
	v_fma_f64 v[15:16], -v[15:16], v[21:22], v[19:20]
	v_div_fmas_f64 v[15:16], v[15:16], v[17:18], v[21:22]
	v_div_fixup_f64 v[8:9], v[15:16], v[11:12], v[7:8]
.LBB9_1559:
	s_or_b32 exec_lo, exec_lo, s4
	v_add_co_u32 v11, s0, s10, v3
	v_add_co_ci_u32_e64 v12, null, s11, 0, s0
	s_cmp_lt_i32 s3, 11
	s_cbranch_scc1 .LBB9_1566
; %bb.1560:
	s_and_b32 s0, 0xffff, s3
	s_mov_b32 s5, 0
	s_cmp_gt_i32 s0, 25
	s_cbranch_scc0 .LBB9_1567
; %bb.1561:
	s_cmp_gt_i32 s0, 28
	s_cbranch_scc0 .LBB9_1568
; %bb.1562:
	;; [unrolled: 3-line block ×4, first 2 shown]
	s_cmp_eq_u32 s0, 46
	s_mov_b32 s7, 0
	s_cbranch_scc0 .LBB9_1572
; %bb.1565:
	global_load_dword v3, v[11:12], off
	s_mov_b32 s4, 0
	s_mov_b32 s6, -1
	s_waitcnt vmcnt(0)
	v_lshlrev_b32_e32 v3, 16, v3
	v_cvt_f64_f32_e32 v[15:16], v3
	s_branch .LBB9_1574
.LBB9_1566:
	s_mov_b32 s0, -1
	s_mov_b32 s6, 0
                                        ; implicit-def: $vgpr15_vgpr16
	s_branch .LBB9_1640
.LBB9_1567:
	s_mov_b32 s7, -1
	s_mov_b32 s6, 0
	s_mov_b32 s4, 0
                                        ; implicit-def: $vgpr15_vgpr16
	s_branch .LBB9_1605
.LBB9_1568:
	s_mov_b32 s7, -1
	s_mov_b32 s6, 0
	s_mov_b32 s4, 0
                                        ; implicit-def: $vgpr15_vgpr16
	s_branch .LBB9_1584
.LBB9_1569:
	s_mov_b32 s7, -1
	s_mov_b32 s6, 0
	s_mov_b32 s4, 0
                                        ; implicit-def: $vgpr15_vgpr16
	s_branch .LBB9_1579
.LBB9_1570:
	s_or_b32 s1, s1, exec_lo
	s_trap 2
	s_cbranch_execz .LBB9_1505
	s_branch .LBB9_1506
.LBB9_1571:
	s_mov_b32 s7, -1
	s_mov_b32 s6, 0
	s_mov_b32 s4, 0
	s_branch .LBB9_1573
.LBB9_1572:
	s_mov_b32 s4, -1
	s_mov_b32 s6, 0
.LBB9_1573:
                                        ; implicit-def: $vgpr15_vgpr16
.LBB9_1574:
	s_and_b32 vcc_lo, exec_lo, s7
	s_cbranch_vccz .LBB9_1578
; %bb.1575:
	s_cmp_eq_u32 s0, 44
	s_cbranch_scc0 .LBB9_1577
; %bb.1576:
	global_load_ubyte v3, v[11:12], off
	s_mov_b32 s4, 0
	s_mov_b32 s6, -1
	s_waitcnt vmcnt(0)
	v_lshlrev_b32_e32 v7, 23, v3
	v_cmp_ne_u32_e32 vcc_lo, 0xff, v3
	v_cvt_f64_f32_e32 v[15:16], v7
	v_cndmask_b32_e32 v7, 0x20000000, v15, vcc_lo
	v_cndmask_b32_e32 v13, 0x7ff80000, v16, vcc_lo
	v_cmp_ne_u32_e32 vcc_lo, 0, v3
	v_cndmask_b32_e32 v16, 0x38000000, v13, vcc_lo
	v_cndmask_b32_e32 v15, 0, v7, vcc_lo
	s_branch .LBB9_1578
.LBB9_1577:
	s_mov_b32 s4, -1
                                        ; implicit-def: $vgpr15_vgpr16
.LBB9_1578:
	s_mov_b32 s7, 0
.LBB9_1579:
	s_and_b32 vcc_lo, exec_lo, s7
	s_cbranch_vccz .LBB9_1583
; %bb.1580:
	s_cmp_eq_u32 s0, 29
	s_cbranch_scc0 .LBB9_1582
; %bb.1581:
	global_load_dwordx2 v[15:16], v[11:12], off
	s_mov_b32 s4, 0
	s_mov_b32 s6, -1
	s_mov_b32 s7, 0
	s_waitcnt vmcnt(0)
	v_cvt_f64_u32_e32 v[16:17], v16
	v_cvt_f64_u32_e32 v[18:19], v15
	v_ldexp_f64 v[16:17], v[16:17], 32
	v_add_f64 v[15:16], v[16:17], v[18:19]
	s_branch .LBB9_1584
.LBB9_1582:
	s_mov_b32 s4, -1
                                        ; implicit-def: $vgpr15_vgpr16
.LBB9_1583:
	s_mov_b32 s7, 0
.LBB9_1584:
	s_and_b32 vcc_lo, exec_lo, s7
	s_cbranch_vccz .LBB9_1604
; %bb.1585:
	s_cmp_lt_i32 s0, 27
	s_cbranch_scc1 .LBB9_1588
; %bb.1586:
	s_cmp_gt_i32 s0, 27
	s_cbranch_scc0 .LBB9_1589
; %bb.1587:
	global_load_dword v3, v[11:12], off
	s_mov_b32 s6, 0
	s_waitcnt vmcnt(0)
	v_cvt_f64_u32_e32 v[15:16], v3
	s_branch .LBB9_1590
.LBB9_1588:
	s_mov_b32 s6, -1
                                        ; implicit-def: $vgpr15_vgpr16
	s_branch .LBB9_1593
.LBB9_1589:
	s_mov_b32 s6, -1
                                        ; implicit-def: $vgpr15_vgpr16
.LBB9_1590:
	s_andn2_b32 vcc_lo, exec_lo, s6
	s_cbranch_vccnz .LBB9_1592
; %bb.1591:
	global_load_ushort v3, v[11:12], off
	s_waitcnt vmcnt(0)
	v_cvt_f64_u32_e32 v[15:16], v3
.LBB9_1592:
	s_mov_b32 s6, 0
.LBB9_1593:
	s_andn2_b32 vcc_lo, exec_lo, s6
	s_cbranch_vccnz .LBB9_1603
; %bb.1594:
	global_load_ubyte v3, v[11:12], off
	s_mov_b32 s6, 0
	s_mov_b32 s7, exec_lo
	s_waitcnt vmcnt(0)
	v_cmpx_lt_i16_e32 0x7f, v3
	s_xor_b32 s7, exec_lo, s7
	s_cbranch_execz .LBB9_1598
; %bb.1595:
	s_mov_b32 s6, -1
	s_mov_b32 s10, exec_lo
	v_cmpx_eq_u16_e32 0x80, v3
; %bb.1596:
	s_xor_b32 s6, exec_lo, -1
; %bb.1597:
	s_or_b32 exec_lo, exec_lo, s10
	s_and_b32 s6, s6, exec_lo
.LBB9_1598:
	s_or_saveexec_b32 s7, s7
	v_bfrev_b32_e32 v15, 4
	v_mov_b32_e32 v16, 0x7ff80000
	s_xor_b32 exec_lo, exec_lo, s7
; %bb.1599:
	v_cmp_ne_u16_e32 vcc_lo, 0, v3
	v_mov_b32_e32 v15, 0
	v_mov_b32_e32 v16, 0
	s_andn2_b32 s6, s6, exec_lo
	s_and_b32 s10, vcc_lo, exec_lo
	s_or_b32 s6, s6, s10
; %bb.1600:
	s_or_b32 exec_lo, exec_lo, s7
	s_and_saveexec_b32 s7, s6
	s_cbranch_execz .LBB9_1602
; %bb.1601:
	v_and_b32_e32 v7, 0xffff, v3
	v_lshlrev_b32_e32 v3, 24, v3
	v_and_b32_e32 v13, 7, v7
	v_bfe_u32 v17, v7, 3, 4
	v_and_b32_e32 v3, 0x80000000, v3
	v_ffbh_u32_e32 v15, v13
	v_cmp_eq_u32_e32 vcc_lo, 0, v17
	v_min_u32_e32 v15, 32, v15
	v_subrev_nc_u32_e32 v16, 28, v15
	v_sub_nc_u32_e32 v15, 29, v15
	v_lshlrev_b32_e32 v7, v16, v7
	v_cndmask_b32_e32 v15, v17, v15, vcc_lo
	v_and_b32_e32 v7, 7, v7
	v_cndmask_b32_e32 v7, v13, v7, vcc_lo
	v_lshl_add_u32 v13, v15, 23, 0x3b800000
	v_lshlrev_b32_e32 v7, 20, v7
	v_or3_b32 v3, v3, v13, v7
	v_cvt_f64_f32_e32 v[15:16], v3
.LBB9_1602:
	s_or_b32 exec_lo, exec_lo, s7
.LBB9_1603:
	s_mov_b32 s6, -1
.LBB9_1604:
	s_mov_b32 s7, 0
.LBB9_1605:
	s_and_b32 vcc_lo, exec_lo, s7
	s_cbranch_vccz .LBB9_1636
; %bb.1606:
	s_cmp_gt_i32 s0, 22
	s_cbranch_scc0 .LBB9_1618
; %bb.1607:
	s_cmp_lt_i32 s0, 24
	s_cbranch_scc1 .LBB9_1619
; %bb.1608:
	s_cmp_gt_i32 s0, 24
	s_cbranch_scc0 .LBB9_1620
; %bb.1609:
	global_load_ubyte v3, v[11:12], off
	s_mov_b32 s6, exec_lo
	s_waitcnt vmcnt(0)
	v_cmpx_lt_i16_e32 0x7f, v3
	s_xor_b32 s6, exec_lo, s6
	s_cbranch_execz .LBB9_1613
; %bb.1610:
	s_mov_b32 s5, -1
	s_mov_b32 s7, exec_lo
	v_cmpx_eq_u16_e32 0x80, v3
; %bb.1611:
	s_xor_b32 s5, exec_lo, -1
; %bb.1612:
	s_or_b32 exec_lo, exec_lo, s7
	s_and_b32 s5, s5, exec_lo
.LBB9_1613:
	s_or_saveexec_b32 s6, s6
	v_bfrev_b32_e32 v15, 4
	v_mov_b32_e32 v16, 0x7ff80000
	s_xor_b32 exec_lo, exec_lo, s6
; %bb.1614:
	v_cmp_ne_u16_e32 vcc_lo, 0, v3
	v_mov_b32_e32 v15, 0
	v_mov_b32_e32 v16, 0
	s_andn2_b32 s5, s5, exec_lo
	s_and_b32 s7, vcc_lo, exec_lo
	s_or_b32 s5, s5, s7
; %bb.1615:
	s_or_b32 exec_lo, exec_lo, s6
	s_and_saveexec_b32 s6, s5
	s_cbranch_execz .LBB9_1617
; %bb.1616:
	v_and_b32_e32 v7, 0xffff, v3
	v_lshlrev_b32_e32 v3, 24, v3
	v_and_b32_e32 v13, 3, v7
	v_bfe_u32 v17, v7, 2, 5
	v_and_b32_e32 v3, 0x80000000, v3
	v_ffbh_u32_e32 v15, v13
	v_cmp_eq_u32_e32 vcc_lo, 0, v17
	v_min_u32_e32 v15, 32, v15
	v_subrev_nc_u32_e32 v16, 29, v15
	v_sub_nc_u32_e32 v15, 30, v15
	v_lshlrev_b32_e32 v7, v16, v7
	v_cndmask_b32_e32 v15, v17, v15, vcc_lo
	v_and_b32_e32 v7, 3, v7
	v_cndmask_b32_e32 v7, v13, v7, vcc_lo
	v_lshl_add_u32 v13, v15, 23, 0x37800000
	v_lshlrev_b32_e32 v7, 21, v7
	v_or3_b32 v3, v3, v13, v7
	v_cvt_f64_f32_e32 v[15:16], v3
.LBB9_1617:
	s_or_b32 exec_lo, exec_lo, s6
	s_mov_b32 s5, 0
	s_branch .LBB9_1621
.LBB9_1618:
	s_mov_b32 s5, -1
                                        ; implicit-def: $vgpr15_vgpr16
	s_branch .LBB9_1627
.LBB9_1619:
	s_mov_b32 s5, -1
                                        ; implicit-def: $vgpr15_vgpr16
	s_branch .LBB9_1624
.LBB9_1620:
	s_mov_b32 s5, -1
                                        ; implicit-def: $vgpr15_vgpr16
.LBB9_1621:
	s_and_b32 vcc_lo, exec_lo, s5
	s_cbranch_vccz .LBB9_1623
; %bb.1622:
	global_load_ubyte v3, v[11:12], off
	s_waitcnt vmcnt(0)
	v_lshlrev_b32_e32 v3, 24, v3
	v_and_b32_e32 v7, 0x7f000000, v3
	v_ffbh_u32_e32 v13, v7
	v_add_nc_u32_e32 v16, 0x1000000, v7
	v_cmp_ne_u32_e32 vcc_lo, 0, v7
	v_min_u32_e32 v13, 32, v13
	v_sub_nc_u32_e64 v13, v13, 4 clamp
	v_lshlrev_b32_e32 v15, v13, v7
	v_lshlrev_b32_e32 v13, 23, v13
	v_lshrrev_b32_e32 v15, 4, v15
	v_sub_nc_u32_e32 v13, v15, v13
	v_ashrrev_i32_e32 v15, 8, v16
	v_add_nc_u32_e32 v13, 0x3c000000, v13
	v_and_or_b32 v13, 0x7f800000, v15, v13
	v_cndmask_b32_e32 v7, 0, v13, vcc_lo
	v_and_or_b32 v3, 0x80000000, v3, v7
	v_cvt_f64_f32_e32 v[15:16], v3
.LBB9_1623:
	s_mov_b32 s5, 0
.LBB9_1624:
	s_andn2_b32 vcc_lo, exec_lo, s5
	s_cbranch_vccnz .LBB9_1626
; %bb.1625:
	global_load_ubyte v3, v[11:12], off
	s_waitcnt vmcnt(0)
	v_lshlrev_b32_e32 v7, 25, v3
	v_lshlrev_b16 v3, 8, v3
	v_lshrrev_b32_e32 v13, 4, v7
	v_and_or_b32 v15, 0x7f00, v3, 0.5
	v_cmp_gt_u32_e32 vcc_lo, 0x8000000, v7
	v_bfe_i32 v3, v3, 0, 16
	v_or_b32_e32 v13, 0x70000000, v13
	v_add_f32_e32 v15, -0.5, v15
	v_mul_f32_e32 v13, 0x7800000, v13
	v_cndmask_b32_e32 v7, v13, v15, vcc_lo
	v_and_or_b32 v3, 0x80000000, v3, v7
	v_cvt_f64_f32_e32 v[15:16], v3
.LBB9_1626:
	s_mov_b32 s5, 0
	s_mov_b32 s6, -1
.LBB9_1627:
	s_andn2_b32 vcc_lo, exec_lo, s5
	s_mov_b32 s5, 0
	s_cbranch_vccnz .LBB9_1636
; %bb.1628:
	s_cmp_gt_i32 s0, 14
	s_cbranch_scc0 .LBB9_1631
; %bb.1629:
	s_cmp_eq_u32 s0, 15
	s_cbranch_scc0 .LBB9_1632
; %bb.1630:
	global_load_ushort v3, v[11:12], off
	s_mov_b32 s4, 0
	s_mov_b32 s6, -1
	s_waitcnt vmcnt(0)
	v_lshlrev_b32_e32 v3, 16, v3
	v_cvt_f64_f32_e32 v[15:16], v3
	s_branch .LBB9_1634
.LBB9_1631:
	s_mov_b32 s5, -1
	s_branch .LBB9_1633
.LBB9_1632:
	s_mov_b32 s4, -1
.LBB9_1633:
                                        ; implicit-def: $vgpr15_vgpr16
.LBB9_1634:
	s_and_b32 vcc_lo, exec_lo, s5
	s_mov_b32 s5, 0
	s_cbranch_vccz .LBB9_1636
; %bb.1635:
	s_cmp_lg_u32 s0, 11
	s_mov_b32 s5, -1
	s_cselect_b32 s4, -1, 0
.LBB9_1636:
	s_and_b32 vcc_lo, exec_lo, s4
	s_cbranch_vccnz .LBB9_2174
; %bb.1637:
	s_andn2_b32 vcc_lo, exec_lo, s5
	s_cbranch_vccnz .LBB9_1639
.LBB9_1638:
	global_load_ubyte v3, v[11:12], off
	v_mov_b32_e32 v15, 0
	s_mov_b32 s6, -1
	s_waitcnt vmcnt(0)
	v_cmp_ne_u16_e32 vcc_lo, 0, v3
	v_cndmask_b32_e64 v16, 0, 0x3ff00000, vcc_lo
.LBB9_1639:
	s_mov_b32 s0, 0
.LBB9_1640:
	s_and_b32 vcc_lo, exec_lo, s0
	s_cbranch_vccz .LBB9_1689
; %bb.1641:
	s_and_b32 s0, 0xffff, s3
	s_cmp_lt_i32 s0, 5
	s_cbranch_scc1 .LBB9_1646
; %bb.1642:
	s_cmp_lt_i32 s0, 8
	s_cbranch_scc1 .LBB9_1647
; %bb.1643:
	;; [unrolled: 3-line block ×3, first 2 shown]
	s_cmp_gt_i32 s0, 9
	s_cbranch_scc0 .LBB9_1649
; %bb.1645:
	global_load_dwordx2 v[15:16], v[11:12], off
	s_mov_b32 s3, 0
	s_branch .LBB9_1650
.LBB9_1646:
	s_mov_b32 s3, -1
                                        ; implicit-def: $vgpr15_vgpr16
	s_branch .LBB9_1668
.LBB9_1647:
	s_mov_b32 s3, -1
                                        ; implicit-def: $vgpr15_vgpr16
	s_branch .LBB9_1656
.LBB9_1648:
	s_mov_b32 s3, -1
                                        ; implicit-def: $vgpr15_vgpr16
	s_branch .LBB9_1653
.LBB9_1649:
	s_mov_b32 s3, -1
                                        ; implicit-def: $vgpr15_vgpr16
.LBB9_1650:
	s_andn2_b32 vcc_lo, exec_lo, s3
	s_cbranch_vccnz .LBB9_1652
; %bb.1651:
	global_load_dword v3, v[11:12], off
	s_waitcnt vmcnt(0)
	v_cvt_f64_f32_e32 v[15:16], v3
.LBB9_1652:
	s_mov_b32 s3, 0
.LBB9_1653:
	s_andn2_b32 vcc_lo, exec_lo, s3
	s_cbranch_vccnz .LBB9_1655
; %bb.1654:
	global_load_dword v3, v[11:12], off
	s_waitcnt vmcnt(0)
	v_cvt_f32_f16_e32 v3, v3
	v_cvt_f64_f32_e32 v[15:16], v3
.LBB9_1655:
	s_mov_b32 s3, 0
.LBB9_1656:
	s_andn2_b32 vcc_lo, exec_lo, s3
	s_cbranch_vccnz .LBB9_1667
; %bb.1657:
	s_cmp_lt_i32 s0, 6
	s_cbranch_scc1 .LBB9_1660
; %bb.1658:
	s_cmp_gt_i32 s0, 6
	s_cbranch_scc0 .LBB9_1661
; %bb.1659:
	global_load_dwordx2 v[15:16], v[11:12], off
	s_mov_b32 s3, 0
	s_branch .LBB9_1662
.LBB9_1660:
	s_mov_b32 s3, -1
                                        ; implicit-def: $vgpr15_vgpr16
	s_branch .LBB9_1665
.LBB9_1661:
	s_mov_b32 s3, -1
                                        ; implicit-def: $vgpr15_vgpr16
.LBB9_1662:
	s_andn2_b32 vcc_lo, exec_lo, s3
	s_cbranch_vccnz .LBB9_1664
; %bb.1663:
	global_load_dword v3, v[11:12], off
	s_waitcnt vmcnt(0)
	v_cvt_f64_f32_e32 v[15:16], v3
.LBB9_1664:
	s_mov_b32 s3, 0
.LBB9_1665:
	s_andn2_b32 vcc_lo, exec_lo, s3
	s_cbranch_vccnz .LBB9_1667
; %bb.1666:
	global_load_ushort v3, v[11:12], off
	s_waitcnt vmcnt(0)
	v_cvt_f32_f16_e32 v3, v3
	v_cvt_f64_f32_e32 v[15:16], v3
.LBB9_1667:
	s_mov_b32 s3, 0
.LBB9_1668:
	s_andn2_b32 vcc_lo, exec_lo, s3
	s_cbranch_vccnz .LBB9_1688
; %bb.1669:
	s_cmp_lt_i32 s0, 2
	s_cbranch_scc1 .LBB9_1673
; %bb.1670:
	s_cmp_lt_i32 s0, 3
	s_cbranch_scc1 .LBB9_1674
; %bb.1671:
	s_cmp_gt_i32 s0, 3
	s_cbranch_scc0 .LBB9_1675
; %bb.1672:
	global_load_dwordx2 v[15:16], v[11:12], off
	s_mov_b32 s3, 0
	s_waitcnt vmcnt(0)
	v_cvt_f64_i32_e32 v[16:17], v16
	v_cvt_f64_u32_e32 v[18:19], v15
	v_ldexp_f64 v[16:17], v[16:17], 32
	v_add_f64 v[15:16], v[16:17], v[18:19]
	s_branch .LBB9_1676
.LBB9_1673:
	s_mov_b32 s3, -1
                                        ; implicit-def: $vgpr15_vgpr16
	s_branch .LBB9_1682
.LBB9_1674:
	s_mov_b32 s3, -1
                                        ; implicit-def: $vgpr15_vgpr16
	s_branch .LBB9_1679
.LBB9_1675:
	s_mov_b32 s3, -1
                                        ; implicit-def: $vgpr15_vgpr16
.LBB9_1676:
	s_andn2_b32 vcc_lo, exec_lo, s3
	s_cbranch_vccnz .LBB9_1678
; %bb.1677:
	global_load_dword v3, v[11:12], off
	s_waitcnt vmcnt(0)
	v_cvt_f64_i32_e32 v[15:16], v3
.LBB9_1678:
	s_mov_b32 s3, 0
.LBB9_1679:
	s_andn2_b32 vcc_lo, exec_lo, s3
	s_cbranch_vccnz .LBB9_1681
; %bb.1680:
	global_load_sshort v3, v[11:12], off
	s_waitcnt vmcnt(0)
	v_cvt_f64_i32_e32 v[15:16], v3
.LBB9_1681:
	s_mov_b32 s3, 0
.LBB9_1682:
	s_andn2_b32 vcc_lo, exec_lo, s3
	s_cbranch_vccnz .LBB9_1688
; %bb.1683:
	s_cmp_gt_i32 s0, 0
	s_mov_b32 s0, 0
	s_cbranch_scc0 .LBB9_1685
; %bb.1684:
	global_load_sbyte v3, v[11:12], off
	s_waitcnt vmcnt(0)
	v_cvt_f64_i32_e32 v[15:16], v3
	s_branch .LBB9_1686
.LBB9_1685:
	s_mov_b32 s0, -1
                                        ; implicit-def: $vgpr15_vgpr16
.LBB9_1686:
	s_andn2_b32 vcc_lo, exec_lo, s0
	s_cbranch_vccnz .LBB9_1688
; %bb.1687:
	global_load_ubyte v3, v[11:12], off
	s_waitcnt vmcnt(0)
	v_cvt_f64_u32_e32 v[15:16], v3
.LBB9_1688:
	s_mov_b32 s6, -1
.LBB9_1689:
	s_andn2_b32 vcc_lo, exec_lo, s6
	s_cbranch_vccnz .LBB9_1772
; %bb.1690:
	s_waitcnt vmcnt(0)
	v_cmp_ge_f64_e64 s0, 0x40200000, |v[15:16]|
                                        ; implicit-def: $vgpr12_vgpr13
	s_and_saveexec_b32 s3, s0
	s_xor_b32 s0, exec_lo, s3
	s_cbranch_execz .LBB9_1692
; %bb.1691:
	v_fma_f64 v[11:12], |v[15:16]|, 0.5, -2.0
	s_mov_b32 s4, 0x977da589
	s_mov_b32 s5, 0x3c833362
	;; [unrolled: 1-line block ×4, first 2 shown]
	v_fma_f64 v[17:18], v[11:12], s[6:7], s[4:5]
	s_mov_b32 s7, 0x3c545cb7
	s_mov_b32 s4, 0x721ebbb4
	;; [unrolled: 1-line block ×3, first 2 shown]
	v_fma_f64 v[19:20], v[11:12], v[17:18], s[6:7]
	s_mov_b32 s6, 0x3b39803f
	s_mov_b32 s7, 0xbc7abc9e
	v_add_f64 v[19:20], v[19:20], s[4:5]
	s_mov_b32 s4, 0x93f65eba
	s_mov_b32 s5, 0x3cdee6d8
	v_fma_f64 v[17:18], v[11:12], v[19:20], -v[17:18]
	v_add_f64 v[17:18], v[17:18], s[4:5]
	s_mov_b32 s4, 0xc297fbeb
	s_mov_b32 s5, 0xbd0a5022
	v_fma_f64 v[19:20], v[11:12], v[17:18], -v[19:20]
	;; [unrolled: 4-line block ×20, first 2 shown]
	v_add_f64 v[19:20], v[19:20], s[4:5]
	s_mov_b32 s4, 0x652b82fe
	s_mov_b32 s5, 0x3ff71547
	v_mul_f64 v[21:22], |v[15:16]|, s[4:5]
	s_mov_b32 s4, 0xf3dde3dd
	s_mov_b32 s5, 0x3f859961
	v_fma_f64 v[17:18], v[11:12], v[19:20], -v[17:18]
	v_rndne_f64_e32 v[21:22], v[21:22]
	v_add_f64 v[17:18], v[17:18], s[4:5]
	s_mov_b32 s4, 0xfefa39ef
	s_mov_b32 s5, 0xbfe62e42
	v_fma_f64 v[15:16], v[21:22], s[4:5], |v[15:16]|
	s_mov_b32 s4, 0xf121b6f0
	s_mov_b32 s5, 0xbf984e9e
	v_cvt_i32_f64_e32 v3, v[21:22]
	v_fma_f64 v[19:20], v[11:12], v[17:18], -v[19:20]
	v_fma_f64 v[15:16], v[21:22], s[6:7], v[15:16]
	s_mov_b32 s6, 0x6a5dcb37
	s_mov_b32 s7, 0x3e5ade15
	v_add_f64 v[19:20], v[19:20], s[4:5]
	s_mov_b32 s4, 0xfca7ab0c
	s_mov_b32 s5, 0x3e928af3
	v_fma_f64 v[23:24], v[15:16], s[6:7], s[4:5]
	s_mov_b32 s4, 0xcea8a32d
	s_mov_b32 s6, 0x623fde64
	;; [unrolled: 1-line block ×4, first 2 shown]
	v_fma_f64 v[17:18], v[11:12], v[19:20], -v[17:18]
	v_fma_f64 v[23:24], v[15:16], v[23:24], s[6:7]
	s_mov_b32 s6, 0x14761f6e
	s_mov_b32 s7, 0x3f2a01a0
	v_add_f64 v[17:18], v[17:18], s[4:5]
	s_mov_b32 s4, 0x7c89e6b0
	s_mov_b32 s5, 0x3efa0199
	v_fma_f64 v[23:24], v[15:16], v[23:24], s[4:5]
	s_mov_b32 s4, 0x342d06ea
	s_mov_b32 s5, 0xbfb84b70
	v_fma_f64 v[19:20], v[11:12], v[17:18], -v[19:20]
	v_fma_f64 v[23:24], v[15:16], v[23:24], s[6:7]
	s_mov_b32 s6, 0x11122322
	s_mov_b32 s7, 0x3f811111
	v_add_f64 v[19:20], v[19:20], s[4:5]
	s_mov_b32 s4, 0x1852b7b0
	s_mov_b32 s5, 0x3f56c16c
	v_fma_f64 v[23:24], v[15:16], v[23:24], s[4:5]
	s_mov_b32 s4, 0x77ac88c0
	s_mov_b32 s5, 0x3fc5f7ac
	;; [unrolled: 10-line block ×3, first 2 shown]
	v_fma_f64 v[19:20], v[11:12], v[17:18], -v[19:20]
	v_fma_f64 v[23:24], v[15:16], v[23:24], s[6:7]
	v_add_f64 v[19:20], v[19:20], s[4:5]
	s_mov_b32 s4, 11
	s_mov_b32 s5, 0x3fe00000
	v_fma_f64 v[23:24], v[15:16], v[23:24], s[4:5]
	s_mov_b32 s4, 0x9035a22a
	s_mov_b32 s5, 0x3fe5a84e
	v_fma_f64 v[11:12], v[11:12], v[19:20], -v[17:18]
	v_fma_f64 v[19:20], v[15:16], v[23:24], 1.0
	v_add_f64 v[11:12], v[11:12], s[4:5]
	v_fma_f64 v[15:16], v[15:16], v[19:20], 1.0
	v_add_f64 v[11:12], v[11:12], -v[17:18]
	v_ldexp_f64 v[15:16], v[15:16], v3
	v_mul_f64 v[11:12], v[11:12], 0.5
	v_mul_f64 v[12:13], v[15:16], v[11:12]
                                        ; implicit-def: $vgpr15_vgpr16
.LBB9_1692:
	s_andn2_saveexec_b32 s3, s0
	s_cbranch_execz .LBB9_1694
; %bb.1693:
	v_and_b32_e32 v12, 0x7fffffff, v16
	v_mov_b32_e32 v11, v15
	s_mov_b32 s4, 0x66119130
	s_mov_b32 s5, 0xbc5646da
	;; [unrolled: 1-line block ×4, first 2 shown]
	v_div_scale_f64 v[17:18], null, v[11:12], v[11:12], 0x40400000
	v_div_scale_f64 v[11:12], vcc_lo, 0x40400000, v[11:12], 0x40400000
	v_cmp_gt_f64_e64 s0, 0x10000000, |v[15:16]|
	v_rcp_f64_e32 v[19:20], v[17:18]
	v_cndmask_b32_e64 v3, 0, 0x100, s0
	v_ldexp_f64 v[27:28], |v[15:16]|, v3
	v_fma_f64 v[21:22], -v[17:18], v[19:20], 1.0
	v_rsq_f64_e32 v[29:30], v[27:28]
	v_fma_f64 v[19:20], v[19:20], v[21:22], v[19:20]
	v_mul_f64 v[31:32], v[27:28], v[29:30]
	v_mul_f64 v[29:30], v[29:30], 0.5
	v_fma_f64 v[21:22], -v[17:18], v[19:20], 1.0
	v_fma_f64 v[33:34], -v[29:30], v[31:32], 0.5
	v_fma_f64 v[19:20], v[19:20], v[21:22], v[19:20]
	v_fma_f64 v[31:32], v[31:32], v[33:34], v[31:32]
	;; [unrolled: 1-line block ×3, first 2 shown]
	v_mul_f64 v[21:22], v[11:12], v[19:20]
	v_fma_f64 v[33:34], -v[31:32], v[31:32], v[27:28]
	v_fma_f64 v[11:12], -v[17:18], v[21:22], v[11:12]
	v_div_fmas_f64 v[11:12], v[11:12], v[19:20], v[21:22]
	v_cmp_nlt_f64_e64 vcc_lo, 0x40900000, |v[15:16]|
	v_div_fixup_f64 v[11:12], v[11:12], |v[15:16]|, 0x40400000
	v_add_f64 v[11:12], v[11:12], -2.0
	v_fma_f64 v[17:18], v[11:12], s[6:7], s[4:5]
	s_mov_b32 s7, 0x3c60adb7
	s_mov_b32 s4, 0x12d98421
	;; [unrolled: 1-line block ×3, first 2 shown]
	v_fma_f64 v[19:20], v[11:12], v[17:18], s[6:7]
	s_mov_b32 s6, 0x6a5dcb37
	s_mov_b32 s7, 0x3e5ade15
	v_add_f64 v[19:20], v[19:20], s[4:5]
	s_mov_b32 s4, 0x76041cd
	s_mov_b32 s5, 0x3c83f3dd
	v_fma_f64 v[17:18], v[11:12], v[19:20], -v[17:18]
	v_add_f64 v[17:18], v[17:18], s[4:5]
	s_mov_b32 s4, 0xabd21fe4
	s_mov_b32 s5, 0xbcb4600b
	v_fma_f64 v[19:20], v[11:12], v[17:18], -v[19:20]
	;; [unrolled: 4-line block ×15, first 2 shown]
	v_add_f64 v[17:18], v[17:18], s[4:5]
	s_mov_b32 s4, 0x652b82fe
	s_mov_b32 s5, 0x3ff71547
	v_mul_f64 v[21:22], |v[15:16]|, s[4:5]
	s_mov_b32 s4, 0xa9225b87
	s_mov_b32 s5, 0x3e2d2c64
	v_fma_f64 v[19:20], v[11:12], v[17:18], -v[19:20]
	v_rndne_f64_e32 v[21:22], v[21:22]
	v_add_f64 v[19:20], v[19:20], s[4:5]
	s_mov_b32 s4, 0xfefa39ef
	s_mov_b32 s5, 0xbfe62e42
	v_fma_f64 v[23:24], v[21:22], s[4:5], |v[15:16]|
	s_mov_b32 s4, 0x3b39803f
	s_mov_b32 s5, 0xbc7abc9e
	v_cvt_i32_f64_e32 v3, v[21:22]
	v_fma_f64 v[17:18], v[11:12], v[19:20], -v[17:18]
	v_fma_f64 v[23:24], v[21:22], s[4:5], v[23:24]
	s_mov_b32 s4, 0x80d6d56d
	s_mov_b32 s5, 0x3e585692
	v_add_f64 v[17:18], v[17:18], s[4:5]
	s_mov_b32 s4, 0xfca7ab0c
	s_mov_b32 s5, 0x3e928af3
	v_fma_f64 v[25:26], v[23:24], s[6:7], s[4:5]
	s_mov_b32 s4, 0x623fde64
	s_mov_b32 s5, 0x3ec71dee
	v_fma_f64 v[19:20], v[11:12], v[17:18], -v[19:20]
	v_fma_f64 v[25:26], v[23:24], v[25:26], s[4:5]
	s_mov_b32 s4, 0xd9cd616e
	s_mov_b32 s5, 0x3e8b8007
	v_add_f64 v[19:20], v[19:20], s[4:5]
	s_mov_b32 s4, 0x7c89e6b0
	s_mov_b32 s5, 0x3efa0199
	v_fma_f64 v[25:26], v[23:24], v[25:26], s[4:5]
	s_mov_b32 s4, 0x14761f6e
	s_mov_b32 s5, 0x3f2a01a0
	v_fma_f64 v[17:18], v[11:12], v[19:20], -v[17:18]
	v_fma_f64 v[25:26], v[23:24], v[25:26], s[4:5]
	s_mov_b32 s4, 0xc101c586
	s_mov_b32 s5, 0x3ec8412b
	v_add_f64 v[17:18], v[17:18], s[4:5]
	s_mov_b32 s4, 0x1852b7b0
	s_mov_b32 s5, 0x3f56c16c
	v_fma_f64 v[25:26], v[23:24], v[25:26], s[4:5]
	s_mov_b32 s4, 0x11122322
	s_mov_b32 s5, 0x3f811111
	v_fma_f64 v[19:20], v[11:12], v[17:18], -v[19:20]
	v_fma_f64 v[25:26], v[23:24], v[25:26], s[4:5]
	s_mov_b32 s4, 0x78999e52
	s_mov_b32 s5, 0x3f120fa3
	v_add_f64 v[19:20], v[19:20], s[4:5]
	s_mov_b32 s4, 0x555502a1
	s_mov_b32 s5, 0x3fa55555
	v_fma_f64 v[25:26], v[23:24], v[25:26], s[4:5]
	s_mov_b32 s4, 0x55555511
	s_mov_b32 s5, 0x3fc55555
	v_fma_f64 v[17:18], v[11:12], v[19:20], -v[17:18]
	v_fma_f64 v[25:26], v[23:24], v[25:26], s[4:5]
	s_mov_b32 s4, 0xa2e59049
	s_mov_b32 s5, 0x3f6b998c
	v_add_f64 v[17:18], v[17:18], s[4:5]
	s_mov_b32 s4, 11
	s_mov_b32 s5, 0x3fe00000
	v_fma_f64 v[25:26], v[23:24], v[25:26], s[4:5]
	s_mov_b32 s4, 0xaca809cb
	s_mov_b32 s5, 0x3fe9be62
	v_fma_f64 v[11:12], v[11:12], v[17:18], -v[19:20]
	v_fma_f64 v[17:18], v[33:34], v[29:30], v[31:32]
	v_fma_f64 v[25:26], v[23:24], v[25:26], 1.0
	v_add_f64 v[11:12], v[11:12], s[4:5]
	v_fma_f64 v[31:32], -v[17:18], v[17:18], v[27:28]
	v_fma_f64 v[21:22], v[23:24], v[25:26], 1.0
	v_add_f64 v[11:12], v[11:12], -v[19:20]
	v_fma_f64 v[17:18], v[31:32], v[29:30], v[17:18]
	v_ldexp_f64 v[19:20], v[21:22], v3
	v_cndmask_b32_e64 v3, 0, 0xffffff80, s0
	v_cmp_class_f64_e64 s0, v[27:28], 0x260
	v_mul_f64 v[11:12], v[11:12], 0.5
	v_ldexp_f64 v[15:16], v[17:18], v3
	v_cndmask_b32_e32 v18, 0x7ff00000, v20, vcc_lo
	v_cndmask_b32_e32 v17, 0, v19, vcc_lo
	v_mul_f64 v[11:12], v[17:18], v[11:12]
	v_cndmask_b32_e64 v16, v16, v28, s0
	v_cndmask_b32_e64 v15, v15, v27, s0
	v_div_scale_f64 v[17:18], null, v[15:16], v[15:16], v[11:12]
	v_rcp_f64_e32 v[19:20], v[17:18]
	v_fma_f64 v[21:22], -v[17:18], v[19:20], 1.0
	v_fma_f64 v[19:20], v[19:20], v[21:22], v[19:20]
	v_fma_f64 v[21:22], -v[17:18], v[19:20], 1.0
	v_fma_f64 v[19:20], v[19:20], v[21:22], v[19:20]
	v_div_scale_f64 v[21:22], vcc_lo, v[11:12], v[15:16], v[11:12]
	v_mul_f64 v[23:24], v[21:22], v[19:20]
	v_fma_f64 v[17:18], -v[17:18], v[23:24], v[21:22]
	v_div_fmas_f64 v[17:18], v[17:18], v[19:20], v[23:24]
	v_div_fixup_f64 v[12:13], v[17:18], v[15:16], v[11:12]
.LBB9_1694:
	s_or_b32 exec_lo, exec_lo, s3
	v_add_co_u32 v15, s0, s8, v2
	v_add_co_ci_u32_e64 v16, null, s9, 0, s0
	s_bfe_u32 s3, s2, 0x80008
	s_cmp_lt_i32 s3, 11
	s_cbranch_scc1 .LBB9_1817
; %bb.1695:
	s_and_b32 s4, 0xffff, s3
	s_mov_b32 s7, -1
	s_mov_b32 s5, 0
	s_cmp_gt_i32 s4, 25
	s_mov_b32 s6, 0
	s_mov_b32 s0, 0
	s_cbranch_scc0 .LBB9_1728
; %bb.1696:
	s_cmp_gt_i32 s4, 28
	s_cbranch_scc0 .LBB9_1711
; %bb.1697:
	s_cmp_gt_i32 s4, 43
	;; [unrolled: 3-line block ×3, first 2 shown]
	s_cbranch_scc0 .LBB9_1701
; %bb.1699:
	s_mov_b32 s0, -1
	s_mov_b32 s7, 0
	s_cmp_eq_u32 s4, 46
	s_cbranch_scc0 .LBB9_1701
; %bb.1700:
	v_cvt_f32_f64_e32 v2, v[0:1]
	s_mov_b32 s0, 0
	s_mov_b32 s6, -1
	v_bfe_u32 v3, v2, 16, 1
	v_cmp_o_f32_e32 vcc_lo, v2, v2
	v_add3_u32 v2, v2, v3, 0x7fff
	v_mov_b32_e32 v3, 0x7fc0
	v_cndmask_b32_sdwa v2, v3, v2, vcc_lo dst_sel:DWORD dst_unused:UNUSED_PAD src0_sel:DWORD src1_sel:WORD_1
	global_store_dword v[15:16], v2, off
.LBB9_1701:
	s_and_b32 vcc_lo, exec_lo, s7
	s_cbranch_vccz .LBB9_1706
; %bb.1702:
	s_cmp_eq_u32 s4, 44
	s_mov_b32 s0, -1
	s_cbranch_scc0 .LBB9_1706
; %bb.1703:
	v_cvt_f32_f64_e32 v2, v[0:1]
	v_mov_b32_e32 v3, 0xff
	s_mov_b32 s6, exec_lo
	v_bfe_u32 v7, v2, 23, 8
	v_cmpx_ne_u32_e32 0xff, v7
	s_cbranch_execz .LBB9_1705
; %bb.1704:
	v_and_b32_e32 v3, 0x400000, v2
	v_and_or_b32 v7, 0x3fffff, v2, v7
	v_lshrrev_b32_e32 v2, 23, v2
	v_cmp_ne_u32_e32 vcc_lo, 0, v3
	v_cmp_ne_u32_e64 s0, 0, v7
	s_and_b32 s0, vcc_lo, s0
	v_cndmask_b32_e64 v3, 0, 1, s0
	v_add_nc_u32_e32 v3, v2, v3
.LBB9_1705:
	s_or_b32 exec_lo, exec_lo, s6
	s_mov_b32 s0, 0
	s_mov_b32 s6, -1
	global_store_byte v[15:16], v3, off
.LBB9_1706:
	s_mov_b32 s7, 0
.LBB9_1707:
	s_and_b32 vcc_lo, exec_lo, s7
	s_cbranch_vccz .LBB9_1710
; %bb.1708:
	s_cmp_eq_u32 s4, 29
	s_mov_b32 s0, -1
	s_cbranch_scc0 .LBB9_1710
; %bb.1709:
	v_trunc_f64_e32 v[2:3], v[0:1]
	s_mov_b32 s0, 0
	s_mov_b32 s6, -1
	v_ldexp_f64 v[17:18], v[2:3], 0xffffffe0
	v_floor_f64_e32 v[17:18], v[17:18]
	v_fma_f64 v[2:3], 0xc1f00000, v[17:18], v[2:3]
	v_cvt_u32_f64_e32 v18, v[17:18]
	v_cvt_u32_f64_e32 v17, v[2:3]
	global_store_dwordx2 v[15:16], v[17:18], off
.LBB9_1710:
	s_mov_b32 s7, 0
.LBB9_1711:
	s_and_b32 vcc_lo, exec_lo, s7
	s_cbranch_vccz .LBB9_1727
; %bb.1712:
	s_cmp_lt_i32 s4, 27
	s_mov_b32 s6, -1
	s_cbranch_scc1 .LBB9_1718
; %bb.1713:
	v_cvt_u32_f64_e32 v2, v[0:1]
	s_cmp_gt_i32 s4, 27
	s_cbranch_scc0 .LBB9_1715
; %bb.1714:
	s_mov_b32 s6, 0
	global_store_dword v[15:16], v2, off
.LBB9_1715:
	s_andn2_b32 vcc_lo, exec_lo, s6
	s_cbranch_vccnz .LBB9_1717
; %bb.1716:
	global_store_short v[15:16], v2, off
.LBB9_1717:
	s_mov_b32 s6, 0
.LBB9_1718:
	s_andn2_b32 vcc_lo, exec_lo, s6
	s_cbranch_vccnz .LBB9_1726
; %bb.1719:
	v_cvt_f32_f64_e32 v2, v[0:1]
	v_mov_b32_e32 v7, 0x80
	s_mov_b32 s6, exec_lo
	v_and_b32_e32 v3, 0x7fffffff, v2
	v_cmpx_gt_u32_e32 0x43800000, v3
	s_cbranch_execz .LBB9_1725
; %bb.1720:
	v_cmp_lt_u32_e32 vcc_lo, 0x3bffffff, v3
	s_mov_b32 s7, 0
                                        ; implicit-def: $vgpr3
	s_and_saveexec_b32 s10, vcc_lo
	s_xor_b32 s10, exec_lo, s10
	s_cbranch_execz .LBB9_2175
; %bb.1721:
	v_bfe_u32 v3, v2, 20, 1
	s_mov_b32 s7, exec_lo
	v_add3_u32 v3, v2, v3, 0x487ffff
	v_lshrrev_b32_e32 v3, 20, v3
	s_andn2_saveexec_b32 s10, s10
	s_cbranch_execnz .LBB9_2176
.LBB9_1722:
	s_or_b32 exec_lo, exec_lo, s10
	v_mov_b32_e32 v7, 0
	s_and_saveexec_b32 s10, s7
.LBB9_1723:
	v_lshrrev_b32_e32 v2, 24, v2
	v_and_or_b32 v7, 0x80, v2, v3
.LBB9_1724:
	s_or_b32 exec_lo, exec_lo, s10
.LBB9_1725:
	s_or_b32 exec_lo, exec_lo, s6
	global_store_byte v[15:16], v7, off
.LBB9_1726:
	s_mov_b32 s6, -1
.LBB9_1727:
	s_mov_b32 s7, 0
.LBB9_1728:
	s_and_b32 vcc_lo, exec_lo, s7
	s_cbranch_vccz .LBB9_1768
; %bb.1729:
	s_cmp_gt_i32 s4, 22
	s_mov_b32 s5, -1
	s_cbranch_scc0 .LBB9_1761
; %bb.1730:
	s_cmp_lt_i32 s4, 24
	s_cbranch_scc1 .LBB9_1750
; %bb.1731:
	s_cmp_gt_i32 s4, 24
	s_cbranch_scc0 .LBB9_1739
; %bb.1732:
	v_cvt_f32_f64_e32 v2, v[0:1]
	v_mov_b32_e32 v7, 0x80
	s_mov_b32 s5, exec_lo
	v_and_b32_e32 v3, 0x7fffffff, v2
	v_cmpx_gt_u32_e32 0x47800000, v3
	s_cbranch_execz .LBB9_1738
; %bb.1733:
	v_cmp_lt_u32_e32 vcc_lo, 0x37ffffff, v3
	s_mov_b32 s6, 0
                                        ; implicit-def: $vgpr3
	s_and_saveexec_b32 s7, vcc_lo
	s_xor_b32 s7, exec_lo, s7
	s_cbranch_execz .LBB9_2178
; %bb.1734:
	v_bfe_u32 v3, v2, 21, 1
	s_mov_b32 s6, exec_lo
	v_add3_u32 v3, v2, v3, 0x88fffff
	v_lshrrev_b32_e32 v3, 21, v3
	s_andn2_saveexec_b32 s7, s7
	s_cbranch_execnz .LBB9_2179
.LBB9_1735:
	s_or_b32 exec_lo, exec_lo, s7
	v_mov_b32_e32 v7, 0
	s_and_saveexec_b32 s7, s6
.LBB9_1736:
	v_lshrrev_b32_e32 v2, 24, v2
	v_and_or_b32 v7, 0x80, v2, v3
.LBB9_1737:
	s_or_b32 exec_lo, exec_lo, s7
.LBB9_1738:
	s_or_b32 exec_lo, exec_lo, s5
	s_mov_b32 s5, 0
	global_store_byte v[15:16], v7, off
.LBB9_1739:
	s_and_b32 vcc_lo, exec_lo, s5
	s_cbranch_vccz .LBB9_1749
; %bb.1740:
	v_cvt_f32_f64_e32 v2, v[0:1]
	s_mov_b32 s5, exec_lo
                                        ; implicit-def: $vgpr3
	v_and_b32_e32 v7, 0x7fffffff, v2
	v_cmpx_gt_u32_e32 0x43f00000, v7
	s_xor_b32 s5, exec_lo, s5
	s_cbranch_execz .LBB9_1746
; %bb.1741:
	s_mov_b32 s6, exec_lo
                                        ; implicit-def: $vgpr3
	v_cmpx_lt_u32_e32 0x3c7fffff, v7
	s_xor_b32 s6, exec_lo, s6
; %bb.1742:
	v_bfe_u32 v3, v2, 20, 1
	v_add3_u32 v3, v2, v3, 0x407ffff
	v_and_b32_e32 v7, 0xff00000, v3
	v_lshrrev_b32_e32 v3, 20, v3
	v_cmp_ne_u32_e32 vcc_lo, 0x7f00000, v7
	v_cndmask_b32_e32 v3, 0x7e, v3, vcc_lo
; %bb.1743:
	s_andn2_saveexec_b32 s6, s6
; %bb.1744:
	v_add_f32_e64 v3, 0x46800000, |v2|
; %bb.1745:
	s_or_b32 exec_lo, exec_lo, s6
                                        ; implicit-def: $vgpr7
.LBB9_1746:
	s_andn2_saveexec_b32 s5, s5
; %bb.1747:
	v_mov_b32_e32 v3, 0x7f
	v_cmp_lt_u32_e32 vcc_lo, 0x7f800000, v7
	v_cndmask_b32_e32 v3, 0x7e, v3, vcc_lo
; %bb.1748:
	s_or_b32 exec_lo, exec_lo, s5
	v_lshrrev_b32_e32 v2, 24, v2
	v_and_or_b32 v2, 0x80, v2, v3
	global_store_byte v[15:16], v2, off
.LBB9_1749:
	s_mov_b32 s5, 0
.LBB9_1750:
	s_andn2_b32 vcc_lo, exec_lo, s5
	s_cbranch_vccnz .LBB9_1760
; %bb.1751:
	v_cvt_f32_f64_e32 v2, v[0:1]
	s_mov_b32 s5, exec_lo
                                        ; implicit-def: $vgpr3
	v_and_b32_e32 v7, 0x7fffffff, v2
	v_cmpx_gt_u32_e32 0x47800000, v7
	s_xor_b32 s5, exec_lo, s5
	s_cbranch_execz .LBB9_1757
; %bb.1752:
	s_mov_b32 s6, exec_lo
                                        ; implicit-def: $vgpr3
	v_cmpx_lt_u32_e32 0x387fffff, v7
	s_xor_b32 s6, exec_lo, s6
; %bb.1753:
	v_bfe_u32 v3, v2, 21, 1
	v_add3_u32 v3, v2, v3, 0x80fffff
	v_lshrrev_b32_e32 v3, 21, v3
; %bb.1754:
	s_andn2_saveexec_b32 s6, s6
; %bb.1755:
	v_add_f32_e64 v3, 0x43000000, |v2|
; %bb.1756:
	s_or_b32 exec_lo, exec_lo, s6
                                        ; implicit-def: $vgpr7
.LBB9_1757:
	s_andn2_saveexec_b32 s5, s5
; %bb.1758:
	v_mov_b32_e32 v3, 0x7f
	v_cmp_lt_u32_e32 vcc_lo, 0x7f800000, v7
	v_cndmask_b32_e32 v3, 0x7c, v3, vcc_lo
; %bb.1759:
	s_or_b32 exec_lo, exec_lo, s5
	v_lshrrev_b32_e32 v2, 24, v2
	v_and_or_b32 v2, 0x80, v2, v3
	global_store_byte v[15:16], v2, off
.LBB9_1760:
	s_mov_b32 s5, 0
	s_mov_b32 s6, -1
.LBB9_1761:
	s_andn2_b32 vcc_lo, exec_lo, s5
	s_mov_b32 s5, 0
	s_cbranch_vccnz .LBB9_1768
; %bb.1762:
	s_cmp_gt_i32 s4, 14
	s_mov_b32 s5, -1
	s_cbranch_scc0 .LBB9_1766
; %bb.1763:
	s_cmp_eq_u32 s4, 15
	s_mov_b32 s0, -1
	s_cbranch_scc0 .LBB9_1765
; %bb.1764:
	v_cvt_f32_f64_e32 v2, v[0:1]
	s_mov_b32 s0, 0
	s_mov_b32 s6, -1
	v_bfe_u32 v3, v2, 16, 1
	v_cmp_o_f32_e32 vcc_lo, v2, v2
	v_add3_u32 v2, v2, v3, 0x7fff
	v_mov_b32_e32 v3, 0x7fc0
	v_cndmask_b32_sdwa v2, v3, v2, vcc_lo dst_sel:DWORD dst_unused:UNUSED_PAD src0_sel:DWORD src1_sel:WORD_1
	global_store_short v[15:16], v2, off
.LBB9_1765:
	s_mov_b32 s5, 0
.LBB9_1766:
	s_and_b32 vcc_lo, exec_lo, s5
	s_mov_b32 s5, 0
	s_cbranch_vccz .LBB9_1768
; %bb.1767:
	s_cmp_lg_u32 s4, 11
	s_mov_b32 s5, -1
	s_cselect_b32 s0, -1, 0
.LBB9_1768:
	s_and_b32 vcc_lo, exec_lo, s0
	s_cbranch_vccnz .LBB9_2177
; %bb.1769:
	s_andn2_b32 vcc_lo, exec_lo, s5
	s_cbranch_vccnz .LBB9_1771
.LBB9_1770:
	v_cmp_neq_f64_e32 vcc_lo, 0, v[0:1]
	s_mov_b32 s6, -1
	v_cndmask_b32_e64 v2, 0, 1, vcc_lo
	global_store_byte v[15:16], v2, off
.LBB9_1771:
	s_mov_b32 s0, 0
	s_branch .LBB9_1818
.LBB9_1772:
	s_mov_b32 s0, 0
	s_mov_b32 s3, 0
                                        ; implicit-def: $vgpr0_vgpr1
                                        ; implicit-def: $sgpr6
                                        ; implicit-def: $vgpr12_vgpr13
.LBB9_1773:
	s_andn2_b32 s2, s12, exec_lo
	s_and_b32 s1, s1, exec_lo
	s_and_b32 s0, s0, exec_lo
	;; [unrolled: 1-line block ×3, first 2 shown]
	s_or_b32 s12, s2, s1
.LBB9_1774:
	s_or_b32 exec_lo, exec_lo, s13
	s_and_saveexec_b32 s1, s12
	s_cbranch_execz .LBB9_1777
; %bb.1775:
	; divergent unreachable
	s_or_b32 exec_lo, exec_lo, s1
	s_and_saveexec_b32 s1, s26
	s_xor_b32 s1, exec_lo, s1
	s_cbranch_execnz .LBB9_1778
.LBB9_1776:
	s_or_b32 exec_lo, exec_lo, s1
	s_and_saveexec_b32 s1, s0
	s_cbranch_execnz .LBB9_1779
	s_branch .LBB9_1816
.LBB9_1777:
	s_or_b32 exec_lo, exec_lo, s1
	s_and_saveexec_b32 s1, s26
	s_xor_b32 s1, exec_lo, s1
	s_cbranch_execz .LBB9_1776
.LBB9_1778:
	s_waitcnt vmcnt(0)
	v_cmp_neq_f64_e32 vcc_lo, 0, v[12:13]
	v_cndmask_b32_e64 v2, 0, 1, vcc_lo
	global_store_byte v[0:1], v2, off
	s_or_b32 exec_lo, exec_lo, s1
	s_and_saveexec_b32 s1, s0
	s_cbranch_execz .LBB9_1816
.LBB9_1779:
	s_sext_i32_i16 s1, s6
	s_mov_b32 s0, -1
	s_cmp_lt_i32 s1, 5
	s_cbranch_scc1 .LBB9_1800
; %bb.1780:
	s_cmp_lt_i32 s1, 8
	s_cbranch_scc1 .LBB9_1790
; %bb.1781:
	;; [unrolled: 3-line block ×3, first 2 shown]
	s_cmp_gt_i32 s1, 9
	s_cbranch_scc0 .LBB9_1784
; %bb.1783:
	v_mov_b32_e32 v14, 0
	s_mov_b32 s0, 0
	s_waitcnt vmcnt(0)
	v_mov_b32_e32 v15, v14
	global_store_dwordx4 v[0:1], v[12:15], off
.LBB9_1784:
	s_andn2_b32 vcc_lo, exec_lo, s0
	s_cbranch_vccnz .LBB9_1786
; %bb.1785:
	s_waitcnt vmcnt(0)
	v_cvt_f32_f64_e32 v2, v[12:13]
	v_mov_b32_e32 v3, 0
	global_store_dwordx2 v[0:1], v[2:3], off
.LBB9_1786:
	s_mov_b32 s0, 0
.LBB9_1787:
	s_andn2_b32 vcc_lo, exec_lo, s0
	s_cbranch_vccnz .LBB9_1789
; %bb.1788:
	s_waitcnt vmcnt(0)
	v_and_or_b32 v2, 0x1ff, v13, v12
	v_lshrrev_b32_e32 v3, 8, v13
	v_bfe_u32 v4, v13, 20, 11
	v_cmp_ne_u32_e32 vcc_lo, 0, v2
	v_sub_nc_u32_e32 v5, 0x3f1, v4
	v_add_nc_u32_e32 v4, 0xfffffc10, v4
	v_cndmask_b32_e64 v2, 0, 1, vcc_lo
	v_and_or_b32 v2, 0xffe, v3, v2
	v_med3_i32 v3, v5, 0, 13
	v_or_b32_e32 v5, 0x1000, v2
	v_lshrrev_b32_e32 v6, v3, v5
	v_lshlrev_b32_e32 v3, v3, v6
	v_cmp_ne_u32_e32 vcc_lo, v3, v5
	v_lshl_or_b32 v5, v4, 12, v2
	v_cndmask_b32_e64 v3, 0, 1, vcc_lo
	v_cmp_gt_i32_e32 vcc_lo, 1, v4
	v_or_b32_e32 v3, v6, v3
	v_cndmask_b32_e32 v3, v5, v3, vcc_lo
	v_and_b32_e32 v5, 7, v3
	v_lshrrev_b32_e32 v3, 2, v3
	v_cmp_lt_i32_e32 vcc_lo, 5, v5
	v_cndmask_b32_e64 v6, 0, 1, vcc_lo
	v_cmp_eq_u32_e32 vcc_lo, 3, v5
	v_cndmask_b32_e64 v5, 0, 1, vcc_lo
	v_cmp_ne_u32_e32 vcc_lo, 0, v2
	v_or_b32_e32 v5, v5, v6
	v_mov_b32_e32 v6, 0x7e00
	v_add_nc_u32_e32 v3, v3, v5
	v_cndmask_b32_e32 v2, 0x7c00, v6, vcc_lo
	v_cmp_gt_i32_e32 vcc_lo, 31, v4
	v_cndmask_b32_e32 v3, 0x7c00, v3, vcc_lo
	v_cmp_eq_u32_e32 vcc_lo, 0x40f, v4
	v_cndmask_b32_e32 v2, v3, v2, vcc_lo
	v_lshrrev_b32_e32 v3, 16, v13
	v_and_or_b32 v2, 0x8000, v3, v2
	v_and_b32_e32 v2, 0xffff, v2
	global_store_dword v[0:1], v2, off
.LBB9_1789:
	s_mov_b32 s0, 0
.LBB9_1790:
	s_andn2_b32 vcc_lo, exec_lo, s0
	s_cbranch_vccnz .LBB9_1799
; %bb.1791:
	s_sext_i32_i16 s1, s6
	s_mov_b32 s0, -1
	s_cmp_lt_i32 s1, 6
	s_cbranch_scc1 .LBB9_1797
; %bb.1792:
	s_cmp_gt_i32 s1, 6
	s_cbranch_scc0 .LBB9_1794
; %bb.1793:
	s_mov_b32 s0, 0
	s_waitcnt vmcnt(0)
	global_store_dwordx2 v[0:1], v[12:13], off
.LBB9_1794:
	s_andn2_b32 vcc_lo, exec_lo, s0
	s_cbranch_vccnz .LBB9_1796
; %bb.1795:
	s_waitcnt vmcnt(0)
	v_cvt_f32_f64_e32 v2, v[12:13]
	global_store_dword v[0:1], v2, off
.LBB9_1796:
	s_mov_b32 s0, 0
.LBB9_1797:
	s_andn2_b32 vcc_lo, exec_lo, s0
	s_cbranch_vccnz .LBB9_1799
; %bb.1798:
	s_waitcnt vmcnt(0)
	v_and_or_b32 v2, 0x1ff, v13, v12
	v_lshrrev_b32_e32 v3, 8, v13
	v_bfe_u32 v4, v13, 20, 11
	v_cmp_ne_u32_e32 vcc_lo, 0, v2
	v_sub_nc_u32_e32 v5, 0x3f1, v4
	v_add_nc_u32_e32 v4, 0xfffffc10, v4
	v_cndmask_b32_e64 v2, 0, 1, vcc_lo
	v_and_or_b32 v2, 0xffe, v3, v2
	v_med3_i32 v3, v5, 0, 13
	v_or_b32_e32 v5, 0x1000, v2
	v_lshrrev_b32_e32 v6, v3, v5
	v_lshlrev_b32_e32 v3, v3, v6
	v_cmp_ne_u32_e32 vcc_lo, v3, v5
	v_lshl_or_b32 v5, v4, 12, v2
	v_cndmask_b32_e64 v3, 0, 1, vcc_lo
	v_cmp_gt_i32_e32 vcc_lo, 1, v4
	v_or_b32_e32 v3, v6, v3
	v_cndmask_b32_e32 v3, v5, v3, vcc_lo
	v_and_b32_e32 v5, 7, v3
	v_lshrrev_b32_e32 v3, 2, v3
	v_cmp_lt_i32_e32 vcc_lo, 5, v5
	v_cndmask_b32_e64 v6, 0, 1, vcc_lo
	v_cmp_eq_u32_e32 vcc_lo, 3, v5
	v_cndmask_b32_e64 v5, 0, 1, vcc_lo
	v_cmp_ne_u32_e32 vcc_lo, 0, v2
	v_or_b32_e32 v5, v5, v6
	v_mov_b32_e32 v6, 0x7e00
	v_add_nc_u32_e32 v3, v3, v5
	v_cndmask_b32_e32 v2, 0x7c00, v6, vcc_lo
	v_cmp_gt_i32_e32 vcc_lo, 31, v4
	v_cndmask_b32_e32 v3, 0x7c00, v3, vcc_lo
	v_cmp_eq_u32_e32 vcc_lo, 0x40f, v4
	v_cndmask_b32_e32 v2, v3, v2, vcc_lo
	v_lshrrev_b32_e32 v3, 16, v13
	v_and_or_b32 v2, 0x8000, v3, v2
	global_store_short v[0:1], v2, off
.LBB9_1799:
	s_mov_b32 s0, 0
.LBB9_1800:
	s_andn2_b32 vcc_lo, exec_lo, s0
	s_cbranch_vccnz .LBB9_1816
; %bb.1801:
	s_sext_i32_i16 s1, s6
	s_mov_b32 s0, -1
	s_cmp_lt_i32 s1, 2
	s_cbranch_scc1 .LBB9_1811
; %bb.1802:
	s_cmp_lt_i32 s1, 3
	s_cbranch_scc1 .LBB9_1808
; %bb.1803:
	s_cmp_gt_i32 s1, 3
	s_cbranch_scc0 .LBB9_1805
; %bb.1804:
	s_waitcnt vmcnt(0)
	v_trunc_f64_e32 v[2:3], v[12:13]
	s_mov_b32 s0, 0
	v_ldexp_f64 v[4:5], v[2:3], 0xffffffe0
	v_floor_f64_e32 v[4:5], v[4:5]
	v_fma_f64 v[2:3], 0xc1f00000, v[4:5], v[2:3]
	v_cvt_i32_f64_e32 v4, v[4:5]
	v_cvt_u32_f64_e32 v3, v[2:3]
	global_store_dwordx2 v[0:1], v[3:4], off
.LBB9_1805:
	s_andn2_b32 vcc_lo, exec_lo, s0
	s_cbranch_vccnz .LBB9_1807
; %bb.1806:
	s_waitcnt vmcnt(0)
	v_cvt_i32_f64_e32 v2, v[12:13]
	global_store_dword v[0:1], v2, off
.LBB9_1807:
	s_mov_b32 s0, 0
.LBB9_1808:
	s_andn2_b32 vcc_lo, exec_lo, s0
	s_cbranch_vccnz .LBB9_1810
; %bb.1809:
	s_waitcnt vmcnt(0)
	v_cvt_i32_f64_e32 v2, v[12:13]
	global_store_short v[0:1], v2, off
.LBB9_1810:
	s_mov_b32 s0, 0
.LBB9_1811:
	s_andn2_b32 vcc_lo, exec_lo, s0
	s_cbranch_vccnz .LBB9_1816
; %bb.1812:
	s_sext_i32_i16 s0, s6
	s_cmp_gt_i32 s0, 0
	s_mov_b32 s0, -1
	s_cbranch_scc0 .LBB9_1814
; %bb.1813:
	s_waitcnt vmcnt(0)
	v_cvt_i32_f64_e32 v2, v[12:13]
	s_mov_b32 s0, 0
	global_store_byte v[0:1], v2, off
.LBB9_1814:
	s_andn2_b32 vcc_lo, exec_lo, s0
	s_cbranch_vccnz .LBB9_1816
; %bb.1815:
	s_waitcnt vmcnt(0)
	v_trunc_f64_e32 v[2:3], v[12:13]
	v_ldexp_f64 v[4:5], v[2:3], 0xffffffe0
	v_floor_f64_e32 v[4:5], v[4:5]
	v_fma_f64 v[2:3], 0xc1f00000, v[4:5], v[2:3]
	v_cvt_u32_f64_e32 v2, v[2:3]
	global_store_byte v[0:1], v2, off
	s_endpgm
.LBB9_1816:
	s_endpgm
.LBB9_1817:
	s_mov_b32 s0, -1
	s_mov_b32 s6, 0
.LBB9_1818:
	s_and_b32 vcc_lo, exec_lo, s0
	s_cbranch_vccz .LBB9_1857
; %bb.1819:
	s_and_b32 s0, 0xffff, s3
	s_mov_b32 s3, -1
	s_cmp_lt_i32 s0, 5
	s_cbranch_scc1 .LBB9_1840
; %bb.1820:
	s_cmp_lt_i32 s0, 8
	s_cbranch_scc1 .LBB9_1830
; %bb.1821:
	;; [unrolled: 3-line block ×3, first 2 shown]
	s_cmp_gt_i32 s0, 9
	s_cbranch_scc0 .LBB9_1824
; %bb.1823:
	v_mov_b32_e32 v2, 0
	s_mov_b32 s3, 0
	v_mov_b32_e32 v3, v2
	global_store_dwordx4 v[15:16], v[0:3], off
.LBB9_1824:
	s_andn2_b32 vcc_lo, exec_lo, s3
	s_cbranch_vccnz .LBB9_1826
; %bb.1825:
	v_cvt_f32_f64_e32 v2, v[0:1]
	v_mov_b32_e32 v3, 0
	global_store_dwordx2 v[15:16], v[2:3], off
.LBB9_1826:
	s_mov_b32 s3, 0
.LBB9_1827:
	s_andn2_b32 vcc_lo, exec_lo, s3
	s_cbranch_vccnz .LBB9_1829
; %bb.1828:
	v_and_or_b32 v2, 0x1ff, v1, v0
	v_lshrrev_b32_e32 v3, 8, v1
	v_bfe_u32 v7, v1, 20, 11
	v_cmp_ne_u32_e32 vcc_lo, 0, v2
	v_sub_nc_u32_e32 v11, 0x3f1, v7
	v_add_nc_u32_e32 v7, 0xfffffc10, v7
	v_cndmask_b32_e64 v2, 0, 1, vcc_lo
	v_and_or_b32 v2, 0xffe, v3, v2
	v_med3_i32 v3, v11, 0, 13
	v_or_b32_e32 v11, 0x1000, v2
	v_lshrrev_b32_e32 v17, v3, v11
	v_lshlrev_b32_e32 v3, v3, v17
	v_cmp_ne_u32_e32 vcc_lo, v3, v11
	v_lshl_or_b32 v11, v7, 12, v2
	v_cndmask_b32_e64 v3, 0, 1, vcc_lo
	v_cmp_gt_i32_e32 vcc_lo, 1, v7
	v_or_b32_e32 v3, v17, v3
	v_cndmask_b32_e32 v3, v11, v3, vcc_lo
	v_and_b32_e32 v11, 7, v3
	v_lshrrev_b32_e32 v3, 2, v3
	v_cmp_lt_i32_e32 vcc_lo, 5, v11
	v_cndmask_b32_e64 v17, 0, 1, vcc_lo
	v_cmp_eq_u32_e32 vcc_lo, 3, v11
	v_cndmask_b32_e64 v11, 0, 1, vcc_lo
	v_cmp_ne_u32_e32 vcc_lo, 0, v2
	v_or_b32_e32 v11, v11, v17
	v_mov_b32_e32 v17, 0x7e00
	v_add_nc_u32_e32 v3, v3, v11
	v_cndmask_b32_e32 v2, 0x7c00, v17, vcc_lo
	v_cmp_gt_i32_e32 vcc_lo, 31, v7
	v_cndmask_b32_e32 v3, 0x7c00, v3, vcc_lo
	v_cmp_eq_u32_e32 vcc_lo, 0x40f, v7
	v_cndmask_b32_e32 v2, v3, v2, vcc_lo
	v_lshrrev_b32_e32 v3, 16, v1
	v_and_or_b32 v2, 0x8000, v3, v2
	v_and_b32_e32 v2, 0xffff, v2
	global_store_dword v[15:16], v2, off
.LBB9_1829:
	s_mov_b32 s3, 0
.LBB9_1830:
	s_andn2_b32 vcc_lo, exec_lo, s3
	s_cbranch_vccnz .LBB9_1839
; %bb.1831:
	s_cmp_lt_i32 s0, 6
	s_mov_b32 s3, -1
	s_cbranch_scc1 .LBB9_1837
; %bb.1832:
	s_cmp_gt_i32 s0, 6
	s_cbranch_scc0 .LBB9_1834
; %bb.1833:
	s_mov_b32 s3, 0
	global_store_dwordx2 v[15:16], v[0:1], off
.LBB9_1834:
	s_andn2_b32 vcc_lo, exec_lo, s3
	s_cbranch_vccnz .LBB9_1836
; %bb.1835:
	v_cvt_f32_f64_e32 v2, v[0:1]
	global_store_dword v[15:16], v2, off
.LBB9_1836:
	s_mov_b32 s3, 0
.LBB9_1837:
	s_andn2_b32 vcc_lo, exec_lo, s3
	s_cbranch_vccnz .LBB9_1839
; %bb.1838:
	v_and_or_b32 v2, 0x1ff, v1, v0
	v_lshrrev_b32_e32 v3, 8, v1
	v_bfe_u32 v7, v1, 20, 11
	v_cmp_ne_u32_e32 vcc_lo, 0, v2
	v_sub_nc_u32_e32 v11, 0x3f1, v7
	v_add_nc_u32_e32 v7, 0xfffffc10, v7
	v_cndmask_b32_e64 v2, 0, 1, vcc_lo
	v_and_or_b32 v2, 0xffe, v3, v2
	v_med3_i32 v3, v11, 0, 13
	v_or_b32_e32 v11, 0x1000, v2
	v_lshrrev_b32_e32 v17, v3, v11
	v_lshlrev_b32_e32 v3, v3, v17
	v_cmp_ne_u32_e32 vcc_lo, v3, v11
	v_lshl_or_b32 v11, v7, 12, v2
	v_cndmask_b32_e64 v3, 0, 1, vcc_lo
	v_cmp_gt_i32_e32 vcc_lo, 1, v7
	v_or_b32_e32 v3, v17, v3
	v_cndmask_b32_e32 v3, v11, v3, vcc_lo
	v_and_b32_e32 v11, 7, v3
	v_lshrrev_b32_e32 v3, 2, v3
	v_cmp_lt_i32_e32 vcc_lo, 5, v11
	v_cndmask_b32_e64 v17, 0, 1, vcc_lo
	v_cmp_eq_u32_e32 vcc_lo, 3, v11
	v_cndmask_b32_e64 v11, 0, 1, vcc_lo
	v_cmp_ne_u32_e32 vcc_lo, 0, v2
	v_or_b32_e32 v11, v11, v17
	v_mov_b32_e32 v17, 0x7e00
	v_add_nc_u32_e32 v3, v3, v11
	v_cndmask_b32_e32 v2, 0x7c00, v17, vcc_lo
	v_cmp_gt_i32_e32 vcc_lo, 31, v7
	v_cndmask_b32_e32 v3, 0x7c00, v3, vcc_lo
	v_cmp_eq_u32_e32 vcc_lo, 0x40f, v7
	v_cndmask_b32_e32 v2, v3, v2, vcc_lo
	v_lshrrev_b32_e32 v3, 16, v1
	v_and_or_b32 v2, 0x8000, v3, v2
	global_store_short v[15:16], v2, off
.LBB9_1839:
	s_mov_b32 s3, 0
.LBB9_1840:
	s_andn2_b32 vcc_lo, exec_lo, s3
	s_cbranch_vccnz .LBB9_1856
; %bb.1841:
	s_cmp_lt_i32 s0, 2
	s_mov_b32 s3, -1
	s_cbranch_scc1 .LBB9_1851
; %bb.1842:
	s_cmp_lt_i32 s0, 3
	s_cbranch_scc1 .LBB9_1848
; %bb.1843:
	s_cmp_gt_i32 s0, 3
	s_cbranch_scc0 .LBB9_1845
; %bb.1844:
	v_trunc_f64_e32 v[2:3], v[0:1]
	s_mov_b32 s3, 0
	v_ldexp_f64 v[17:18], v[2:3], 0xffffffe0
	v_floor_f64_e32 v[17:18], v[17:18]
	v_fma_f64 v[2:3], 0xc1f00000, v[17:18], v[2:3]
	v_cvt_i32_f64_e32 v18, v[17:18]
	v_cvt_u32_f64_e32 v17, v[2:3]
	global_store_dwordx2 v[15:16], v[17:18], off
.LBB9_1845:
	s_andn2_b32 vcc_lo, exec_lo, s3
	s_cbranch_vccnz .LBB9_1847
; %bb.1846:
	v_cvt_i32_f64_e32 v2, v[0:1]
	global_store_dword v[15:16], v2, off
.LBB9_1847:
	s_mov_b32 s3, 0
.LBB9_1848:
	s_andn2_b32 vcc_lo, exec_lo, s3
	s_cbranch_vccnz .LBB9_1850
; %bb.1849:
	v_cvt_i32_f64_e32 v2, v[0:1]
	global_store_short v[15:16], v2, off
.LBB9_1850:
	s_mov_b32 s3, 0
.LBB9_1851:
	s_andn2_b32 vcc_lo, exec_lo, s3
	s_cbranch_vccnz .LBB9_1856
; %bb.1852:
	s_cmp_gt_i32 s0, 0
	s_mov_b32 s0, -1
	s_cbranch_scc0 .LBB9_1854
; %bb.1853:
	v_cvt_i32_f64_e32 v2, v[0:1]
	s_mov_b32 s0, 0
	global_store_byte v[15:16], v2, off
.LBB9_1854:
	s_andn2_b32 vcc_lo, exec_lo, s0
	s_cbranch_vccnz .LBB9_1856
; %bb.1855:
	v_trunc_f64_e32 v[0:1], v[0:1]
	v_ldexp_f64 v[2:3], v[0:1], 0xffffffe0
	v_floor_f64_e32 v[2:3], v[2:3]
	v_fma_f64 v[0:1], 0xc1f00000, v[2:3], v[0:1]
	v_cvt_u32_f64_e32 v0, v[0:1]
	global_store_byte v[15:16], v0, off
.LBB9_1856:
	s_mov_b32 s6, -1
.LBB9_1857:
	s_andn2_b32 vcc_lo, exec_lo, s6
	s_cbranch_vccnz .LBB9_2172
; %bb.1858:
	s_lshr_b32 s0, s2, 8
	s_and_b32 s6, s0, 0xff
	v_add_co_u32 v0, s0, s8, v6
	v_add_co_ci_u32_e64 v1, null, s9, 0, s0
	s_cmp_lt_i32 s6, 11
	s_cbranch_scc1 .LBB9_1936
; %bb.1859:
	s_and_b32 s2, 0xffff, s6
	s_mov_b32 s5, -1
	s_mov_b32 s3, 0
	s_cmp_gt_i32 s2, 25
	s_mov_b32 s4, 0
	s_mov_b32 s0, 0
	s_cbranch_scc0 .LBB9_1892
; %bb.1860:
	s_cmp_gt_i32 s2, 28
	s_cbranch_scc0 .LBB9_1875
; %bb.1861:
	s_cmp_gt_i32 s2, 43
	s_cbranch_scc0 .LBB9_1871
; %bb.1862:
	s_cmp_gt_i32 s2, 45
	s_cbranch_scc0 .LBB9_1865
; %bb.1863:
	s_mov_b32 s0, -1
	s_mov_b32 s5, 0
	s_cmp_eq_u32 s2, 46
	s_cbranch_scc0 .LBB9_1865
; %bb.1864:
	v_cvt_f32_f64_e32 v2, v[4:5]
	s_mov_b32 s0, 0
	s_mov_b32 s4, -1
	v_bfe_u32 v3, v2, 16, 1
	v_cmp_o_f32_e32 vcc_lo, v2, v2
	v_add3_u32 v2, v2, v3, 0x7fff
	v_mov_b32_e32 v3, 0x7fc0
	v_cndmask_b32_sdwa v2, v3, v2, vcc_lo dst_sel:DWORD dst_unused:UNUSED_PAD src0_sel:DWORD src1_sel:WORD_1
	global_store_dword v[0:1], v2, off
.LBB9_1865:
	s_and_b32 vcc_lo, exec_lo, s5
	s_cbranch_vccz .LBB9_1870
; %bb.1866:
	s_cmp_eq_u32 s2, 44
	s_mov_b32 s0, -1
	s_cbranch_scc0 .LBB9_1870
; %bb.1867:
	v_cvt_f32_f64_e32 v2, v[4:5]
	v_mov_b32_e32 v3, 0xff
	s_mov_b32 s4, exec_lo
	v_bfe_u32 v6, v2, 23, 8
	v_cmpx_ne_u32_e32 0xff, v6
	s_cbranch_execz .LBB9_1869
; %bb.1868:
	v_and_b32_e32 v3, 0x400000, v2
	v_and_or_b32 v6, 0x3fffff, v2, v6
	v_lshrrev_b32_e32 v2, 23, v2
	v_cmp_ne_u32_e32 vcc_lo, 0, v3
	v_cmp_ne_u32_e64 s0, 0, v6
	s_and_b32 s0, vcc_lo, s0
	v_cndmask_b32_e64 v3, 0, 1, s0
	v_add_nc_u32_e32 v3, v2, v3
.LBB9_1869:
	s_or_b32 exec_lo, exec_lo, s4
	s_mov_b32 s0, 0
	s_mov_b32 s4, -1
	global_store_byte v[0:1], v3, off
.LBB9_1870:
	s_mov_b32 s5, 0
.LBB9_1871:
	s_and_b32 vcc_lo, exec_lo, s5
	s_cbranch_vccz .LBB9_1874
; %bb.1872:
	s_cmp_eq_u32 s2, 29
	s_mov_b32 s0, -1
	s_cbranch_scc0 .LBB9_1874
; %bb.1873:
	v_trunc_f64_e32 v[2:3], v[4:5]
	s_mov_b32 s0, 0
	s_mov_b32 s4, -1
	v_ldexp_f64 v[6:7], v[2:3], 0xffffffe0
	v_floor_f64_e32 v[6:7], v[6:7]
	v_fma_f64 v[2:3], 0xc1f00000, v[6:7], v[2:3]
	v_cvt_u32_f64_e32 v7, v[6:7]
	v_cvt_u32_f64_e32 v6, v[2:3]
	global_store_dwordx2 v[0:1], v[6:7], off
.LBB9_1874:
	s_mov_b32 s5, 0
.LBB9_1875:
	s_and_b32 vcc_lo, exec_lo, s5
	s_cbranch_vccz .LBB9_1891
; %bb.1876:
	s_cmp_lt_i32 s2, 27
	s_mov_b32 s4, -1
	s_cbranch_scc1 .LBB9_1882
; %bb.1877:
	s_cmp_gt_i32 s2, 27
	s_cbranch_scc0 .LBB9_1879
; %bb.1878:
	v_cvt_u32_f64_e32 v2, v[4:5]
	s_mov_b32 s4, 0
	global_store_dword v[0:1], v2, off
.LBB9_1879:
	s_andn2_b32 vcc_lo, exec_lo, s4
	s_cbranch_vccnz .LBB9_1881
; %bb.1880:
	v_cvt_u32_f64_e32 v2, v[4:5]
	global_store_short v[0:1], v2, off
.LBB9_1881:
	s_mov_b32 s4, 0
.LBB9_1882:
	s_andn2_b32 vcc_lo, exec_lo, s4
	s_cbranch_vccnz .LBB9_1890
; %bb.1883:
	v_cvt_f32_f64_e32 v2, v[4:5]
	v_mov_b32_e32 v6, 0x80
	s_mov_b32 s4, exec_lo
	v_and_b32_e32 v3, 0x7fffffff, v2
	v_cmpx_gt_u32_e32 0x43800000, v3
	s_cbranch_execz .LBB9_1889
; %bb.1884:
	v_cmp_lt_u32_e32 vcc_lo, 0x3bffffff, v3
	s_mov_b32 s5, 0
                                        ; implicit-def: $vgpr3
	s_and_saveexec_b32 s7, vcc_lo
	s_xor_b32 s7, exec_lo, s7
	s_cbranch_execz .LBB9_2180
; %bb.1885:
	v_bfe_u32 v3, v2, 20, 1
	s_mov_b32 s5, exec_lo
	v_add3_u32 v3, v2, v3, 0x487ffff
	v_lshrrev_b32_e32 v3, 20, v3
	s_andn2_saveexec_b32 s7, s7
	s_cbranch_execnz .LBB9_2181
.LBB9_1886:
	s_or_b32 exec_lo, exec_lo, s7
	v_mov_b32_e32 v6, 0
	s_and_saveexec_b32 s7, s5
.LBB9_1887:
	v_lshrrev_b32_e32 v2, 24, v2
	v_and_or_b32 v6, 0x80, v2, v3
.LBB9_1888:
	s_or_b32 exec_lo, exec_lo, s7
.LBB9_1889:
	s_or_b32 exec_lo, exec_lo, s4
	global_store_byte v[0:1], v6, off
.LBB9_1890:
	s_mov_b32 s4, -1
.LBB9_1891:
	s_mov_b32 s5, 0
.LBB9_1892:
	s_and_b32 vcc_lo, exec_lo, s5
	s_cbranch_vccz .LBB9_1932
; %bb.1893:
	s_cmp_gt_i32 s2, 22
	s_mov_b32 s3, -1
	s_cbranch_scc0 .LBB9_1925
; %bb.1894:
	s_cmp_lt_i32 s2, 24
	s_cbranch_scc1 .LBB9_1914
; %bb.1895:
	s_cmp_gt_i32 s2, 24
	s_cbranch_scc0 .LBB9_1903
; %bb.1896:
	v_cvt_f32_f64_e32 v2, v[4:5]
	v_mov_b32_e32 v6, 0x80
	s_mov_b32 s3, exec_lo
	v_and_b32_e32 v3, 0x7fffffff, v2
	v_cmpx_gt_u32_e32 0x47800000, v3
	s_cbranch_execz .LBB9_1902
; %bb.1897:
	v_cmp_lt_u32_e32 vcc_lo, 0x37ffffff, v3
	s_mov_b32 s4, 0
                                        ; implicit-def: $vgpr3
	s_and_saveexec_b32 s5, vcc_lo
	s_xor_b32 s5, exec_lo, s5
	s_cbranch_execz .LBB9_2183
; %bb.1898:
	v_bfe_u32 v3, v2, 21, 1
	s_mov_b32 s4, exec_lo
	v_add3_u32 v3, v2, v3, 0x88fffff
	v_lshrrev_b32_e32 v3, 21, v3
	s_andn2_saveexec_b32 s5, s5
	s_cbranch_execnz .LBB9_2184
.LBB9_1899:
	s_or_b32 exec_lo, exec_lo, s5
	v_mov_b32_e32 v6, 0
	s_and_saveexec_b32 s5, s4
.LBB9_1900:
	v_lshrrev_b32_e32 v2, 24, v2
	v_and_or_b32 v6, 0x80, v2, v3
.LBB9_1901:
	s_or_b32 exec_lo, exec_lo, s5
.LBB9_1902:
	s_or_b32 exec_lo, exec_lo, s3
	s_mov_b32 s3, 0
	global_store_byte v[0:1], v6, off
.LBB9_1903:
	s_and_b32 vcc_lo, exec_lo, s3
	s_cbranch_vccz .LBB9_1913
; %bb.1904:
	v_cvt_f32_f64_e32 v2, v[4:5]
	s_mov_b32 s3, exec_lo
                                        ; implicit-def: $vgpr3
	v_and_b32_e32 v6, 0x7fffffff, v2
	v_cmpx_gt_u32_e32 0x43f00000, v6
	s_xor_b32 s3, exec_lo, s3
	s_cbranch_execz .LBB9_1910
; %bb.1905:
	s_mov_b32 s4, exec_lo
                                        ; implicit-def: $vgpr3
	v_cmpx_lt_u32_e32 0x3c7fffff, v6
	s_xor_b32 s4, exec_lo, s4
; %bb.1906:
	v_bfe_u32 v3, v2, 20, 1
	v_add3_u32 v3, v2, v3, 0x407ffff
	v_and_b32_e32 v6, 0xff00000, v3
	v_lshrrev_b32_e32 v3, 20, v3
	v_cmp_ne_u32_e32 vcc_lo, 0x7f00000, v6
	v_cndmask_b32_e32 v3, 0x7e, v3, vcc_lo
; %bb.1907:
	s_andn2_saveexec_b32 s4, s4
; %bb.1908:
	v_add_f32_e64 v3, 0x46800000, |v2|
; %bb.1909:
	s_or_b32 exec_lo, exec_lo, s4
                                        ; implicit-def: $vgpr6
.LBB9_1910:
	s_andn2_saveexec_b32 s3, s3
; %bb.1911:
	v_mov_b32_e32 v3, 0x7f
	v_cmp_lt_u32_e32 vcc_lo, 0x7f800000, v6
	v_cndmask_b32_e32 v3, 0x7e, v3, vcc_lo
; %bb.1912:
	s_or_b32 exec_lo, exec_lo, s3
	v_lshrrev_b32_e32 v2, 24, v2
	v_and_or_b32 v2, 0x80, v2, v3
	global_store_byte v[0:1], v2, off
.LBB9_1913:
	s_mov_b32 s3, 0
.LBB9_1914:
	s_andn2_b32 vcc_lo, exec_lo, s3
	s_cbranch_vccnz .LBB9_1924
; %bb.1915:
	v_cvt_f32_f64_e32 v2, v[4:5]
	s_mov_b32 s3, exec_lo
                                        ; implicit-def: $vgpr3
	v_and_b32_e32 v6, 0x7fffffff, v2
	v_cmpx_gt_u32_e32 0x47800000, v6
	s_xor_b32 s3, exec_lo, s3
	s_cbranch_execz .LBB9_1921
; %bb.1916:
	s_mov_b32 s4, exec_lo
                                        ; implicit-def: $vgpr3
	v_cmpx_lt_u32_e32 0x387fffff, v6
	s_xor_b32 s4, exec_lo, s4
; %bb.1917:
	v_bfe_u32 v3, v2, 21, 1
	v_add3_u32 v3, v2, v3, 0x80fffff
	v_lshrrev_b32_e32 v3, 21, v3
; %bb.1918:
	s_andn2_saveexec_b32 s4, s4
; %bb.1919:
	v_add_f32_e64 v3, 0x43000000, |v2|
; %bb.1920:
	s_or_b32 exec_lo, exec_lo, s4
                                        ; implicit-def: $vgpr6
.LBB9_1921:
	s_andn2_saveexec_b32 s3, s3
; %bb.1922:
	v_mov_b32_e32 v3, 0x7f
	v_cmp_lt_u32_e32 vcc_lo, 0x7f800000, v6
	v_cndmask_b32_e32 v3, 0x7c, v3, vcc_lo
; %bb.1923:
	s_or_b32 exec_lo, exec_lo, s3
	v_lshrrev_b32_e32 v2, 24, v2
	v_and_or_b32 v2, 0x80, v2, v3
	global_store_byte v[0:1], v2, off
.LBB9_1924:
	s_mov_b32 s3, 0
	s_mov_b32 s4, -1
.LBB9_1925:
	s_andn2_b32 vcc_lo, exec_lo, s3
	s_mov_b32 s3, 0
	s_cbranch_vccnz .LBB9_1932
; %bb.1926:
	s_cmp_gt_i32 s2, 14
	s_mov_b32 s3, -1
	s_cbranch_scc0 .LBB9_1930
; %bb.1927:
	s_cmp_eq_u32 s2, 15
	s_mov_b32 s0, -1
	s_cbranch_scc0 .LBB9_1929
; %bb.1928:
	v_cvt_f32_f64_e32 v2, v[4:5]
	s_mov_b32 s0, 0
	s_mov_b32 s4, -1
	v_bfe_u32 v3, v2, 16, 1
	v_cmp_o_f32_e32 vcc_lo, v2, v2
	v_add3_u32 v2, v2, v3, 0x7fff
	v_mov_b32_e32 v3, 0x7fc0
	v_cndmask_b32_sdwa v2, v3, v2, vcc_lo dst_sel:DWORD dst_unused:UNUSED_PAD src0_sel:DWORD src1_sel:WORD_1
	global_store_short v[0:1], v2, off
.LBB9_1929:
	s_mov_b32 s3, 0
.LBB9_1930:
	s_and_b32 vcc_lo, exec_lo, s3
	s_mov_b32 s3, 0
	s_cbranch_vccz .LBB9_1932
; %bb.1931:
	s_cmp_lg_u32 s2, 11
	s_mov_b32 s3, -1
	s_cselect_b32 s0, -1, 0
.LBB9_1932:
	s_and_b32 vcc_lo, exec_lo, s0
	s_cbranch_vccnz .LBB9_2182
; %bb.1933:
	s_andn2_b32 vcc_lo, exec_lo, s3
	s_cbranch_vccnz .LBB9_1935
.LBB9_1934:
	v_cmp_neq_f64_e32 vcc_lo, 0, v[4:5]
	s_mov_b32 s4, -1
	v_cndmask_b32_e64 v2, 0, 1, vcc_lo
	global_store_byte v[0:1], v2, off
.LBB9_1935:
	s_mov_b32 s0, 0
	s_branch .LBB9_1937
.LBB9_1936:
	s_mov_b32 s0, -1
	s_mov_b32 s4, 0
.LBB9_1937:
	s_and_b32 vcc_lo, exec_lo, s0
	s_cbranch_vccz .LBB9_1976
; %bb.1938:
	s_and_b32 s0, 0xffff, s6
	s_mov_b32 s2, -1
	s_cmp_lt_i32 s0, 5
	s_cbranch_scc1 .LBB9_1959
; %bb.1939:
	s_cmp_lt_i32 s0, 8
	s_cbranch_scc1 .LBB9_1949
; %bb.1940:
	;; [unrolled: 3-line block ×3, first 2 shown]
	s_cmp_gt_i32 s0, 9
	s_cbranch_scc0 .LBB9_1943
; %bb.1942:
	v_mov_b32_e32 v6, 0
	s_mov_b32 s2, 0
	v_mov_b32_e32 v7, v6
	global_store_dwordx4 v[0:1], v[4:7], off
.LBB9_1943:
	s_andn2_b32 vcc_lo, exec_lo, s2
	s_cbranch_vccnz .LBB9_1945
; %bb.1944:
	v_cvt_f32_f64_e32 v2, v[4:5]
	v_mov_b32_e32 v3, 0
	global_store_dwordx2 v[0:1], v[2:3], off
.LBB9_1945:
	s_mov_b32 s2, 0
.LBB9_1946:
	s_andn2_b32 vcc_lo, exec_lo, s2
	s_cbranch_vccnz .LBB9_1948
; %bb.1947:
	v_and_or_b32 v2, 0x1ff, v5, v4
	v_lshrrev_b32_e32 v3, 8, v5
	v_bfe_u32 v6, v5, 20, 11
	v_cmp_ne_u32_e32 vcc_lo, 0, v2
	v_sub_nc_u32_e32 v7, 0x3f1, v6
	v_add_nc_u32_e32 v6, 0xfffffc10, v6
	v_cndmask_b32_e64 v2, 0, 1, vcc_lo
	v_and_or_b32 v2, 0xffe, v3, v2
	v_med3_i32 v3, v7, 0, 13
	v_or_b32_e32 v7, 0x1000, v2
	v_lshrrev_b32_e32 v11, v3, v7
	v_lshlrev_b32_e32 v3, v3, v11
	v_cmp_ne_u32_e32 vcc_lo, v3, v7
	v_lshl_or_b32 v7, v6, 12, v2
	v_cndmask_b32_e64 v3, 0, 1, vcc_lo
	v_cmp_gt_i32_e32 vcc_lo, 1, v6
	v_or_b32_e32 v3, v11, v3
	v_cndmask_b32_e32 v3, v7, v3, vcc_lo
	v_and_b32_e32 v7, 7, v3
	v_lshrrev_b32_e32 v3, 2, v3
	v_cmp_lt_i32_e32 vcc_lo, 5, v7
	v_cndmask_b32_e64 v11, 0, 1, vcc_lo
	v_cmp_eq_u32_e32 vcc_lo, 3, v7
	v_cndmask_b32_e64 v7, 0, 1, vcc_lo
	v_cmp_ne_u32_e32 vcc_lo, 0, v2
	v_or_b32_e32 v7, v7, v11
	v_mov_b32_e32 v11, 0x7e00
	v_add_nc_u32_e32 v3, v3, v7
	v_cndmask_b32_e32 v2, 0x7c00, v11, vcc_lo
	v_cmp_gt_i32_e32 vcc_lo, 31, v6
	v_cndmask_b32_e32 v3, 0x7c00, v3, vcc_lo
	v_cmp_eq_u32_e32 vcc_lo, 0x40f, v6
	v_cndmask_b32_e32 v2, v3, v2, vcc_lo
	v_lshrrev_b32_e32 v3, 16, v5
	v_and_or_b32 v2, 0x8000, v3, v2
	v_and_b32_e32 v2, 0xffff, v2
	global_store_dword v[0:1], v2, off
.LBB9_1948:
	s_mov_b32 s2, 0
.LBB9_1949:
	s_andn2_b32 vcc_lo, exec_lo, s2
	s_cbranch_vccnz .LBB9_1958
; %bb.1950:
	s_cmp_lt_i32 s0, 6
	s_mov_b32 s2, -1
	s_cbranch_scc1 .LBB9_1956
; %bb.1951:
	s_cmp_gt_i32 s0, 6
	s_cbranch_scc0 .LBB9_1953
; %bb.1952:
	s_mov_b32 s2, 0
	global_store_dwordx2 v[0:1], v[4:5], off
.LBB9_1953:
	s_andn2_b32 vcc_lo, exec_lo, s2
	s_cbranch_vccnz .LBB9_1955
; %bb.1954:
	v_cvt_f32_f64_e32 v2, v[4:5]
	global_store_dword v[0:1], v2, off
.LBB9_1955:
	s_mov_b32 s2, 0
.LBB9_1956:
	s_andn2_b32 vcc_lo, exec_lo, s2
	s_cbranch_vccnz .LBB9_1958
; %bb.1957:
	v_and_or_b32 v2, 0x1ff, v5, v4
	v_lshrrev_b32_e32 v3, 8, v5
	v_bfe_u32 v6, v5, 20, 11
	v_cmp_ne_u32_e32 vcc_lo, 0, v2
	v_sub_nc_u32_e32 v7, 0x3f1, v6
	v_add_nc_u32_e32 v6, 0xfffffc10, v6
	v_cndmask_b32_e64 v2, 0, 1, vcc_lo
	v_and_or_b32 v2, 0xffe, v3, v2
	v_med3_i32 v3, v7, 0, 13
	v_or_b32_e32 v7, 0x1000, v2
	v_lshrrev_b32_e32 v11, v3, v7
	v_lshlrev_b32_e32 v3, v3, v11
	v_cmp_ne_u32_e32 vcc_lo, v3, v7
	v_lshl_or_b32 v7, v6, 12, v2
	v_cndmask_b32_e64 v3, 0, 1, vcc_lo
	v_cmp_gt_i32_e32 vcc_lo, 1, v6
	v_or_b32_e32 v3, v11, v3
	v_cndmask_b32_e32 v3, v7, v3, vcc_lo
	v_and_b32_e32 v7, 7, v3
	v_lshrrev_b32_e32 v3, 2, v3
	v_cmp_lt_i32_e32 vcc_lo, 5, v7
	v_cndmask_b32_e64 v11, 0, 1, vcc_lo
	v_cmp_eq_u32_e32 vcc_lo, 3, v7
	v_cndmask_b32_e64 v7, 0, 1, vcc_lo
	v_cmp_ne_u32_e32 vcc_lo, 0, v2
	v_or_b32_e32 v7, v7, v11
	v_mov_b32_e32 v11, 0x7e00
	v_add_nc_u32_e32 v3, v3, v7
	v_cndmask_b32_e32 v2, 0x7c00, v11, vcc_lo
	v_cmp_gt_i32_e32 vcc_lo, 31, v6
	v_cndmask_b32_e32 v3, 0x7c00, v3, vcc_lo
	v_cmp_eq_u32_e32 vcc_lo, 0x40f, v6
	v_cndmask_b32_e32 v2, v3, v2, vcc_lo
	v_lshrrev_b32_e32 v3, 16, v5
	v_and_or_b32 v2, 0x8000, v3, v2
	global_store_short v[0:1], v2, off
.LBB9_1958:
	s_mov_b32 s2, 0
.LBB9_1959:
	s_andn2_b32 vcc_lo, exec_lo, s2
	s_cbranch_vccnz .LBB9_1975
; %bb.1960:
	s_cmp_lt_i32 s0, 2
	s_mov_b32 s2, -1
	s_cbranch_scc1 .LBB9_1970
; %bb.1961:
	s_cmp_lt_i32 s0, 3
	s_cbranch_scc1 .LBB9_1967
; %bb.1962:
	s_cmp_gt_i32 s0, 3
	s_cbranch_scc0 .LBB9_1964
; %bb.1963:
	v_trunc_f64_e32 v[2:3], v[4:5]
	s_mov_b32 s2, 0
	v_ldexp_f64 v[6:7], v[2:3], 0xffffffe0
	v_floor_f64_e32 v[6:7], v[6:7]
	v_fma_f64 v[2:3], 0xc1f00000, v[6:7], v[2:3]
	v_cvt_i32_f64_e32 v7, v[6:7]
	v_cvt_u32_f64_e32 v6, v[2:3]
	global_store_dwordx2 v[0:1], v[6:7], off
.LBB9_1964:
	s_andn2_b32 vcc_lo, exec_lo, s2
	s_cbranch_vccnz .LBB9_1966
; %bb.1965:
	v_cvt_i32_f64_e32 v2, v[4:5]
	global_store_dword v[0:1], v2, off
.LBB9_1966:
	s_mov_b32 s2, 0
.LBB9_1967:
	s_andn2_b32 vcc_lo, exec_lo, s2
	s_cbranch_vccnz .LBB9_1969
; %bb.1968:
	v_cvt_i32_f64_e32 v2, v[4:5]
	global_store_short v[0:1], v2, off
.LBB9_1969:
	s_mov_b32 s2, 0
.LBB9_1970:
	s_andn2_b32 vcc_lo, exec_lo, s2
	s_cbranch_vccnz .LBB9_1975
; %bb.1971:
	s_cmp_gt_i32 s0, 0
	s_mov_b32 s0, -1
	s_cbranch_scc0 .LBB9_1973
; %bb.1972:
	v_cvt_i32_f64_e32 v2, v[4:5]
	s_mov_b32 s0, 0
	global_store_byte v[0:1], v2, off
.LBB9_1973:
	s_andn2_b32 vcc_lo, exec_lo, s0
	s_cbranch_vccnz .LBB9_1975
; %bb.1974:
	v_trunc_f64_e32 v[2:3], v[4:5]
	v_ldexp_f64 v[4:5], v[2:3], 0xffffffe0
	v_floor_f64_e32 v[4:5], v[4:5]
	v_fma_f64 v[2:3], 0xc1f00000, v[4:5], v[2:3]
	v_cvt_u32_f64_e32 v2, v[2:3]
	global_store_byte v[0:1], v2, off
.LBB9_1975:
	s_mov_b32 s4, -1
.LBB9_1976:
	s_andn2_b32 vcc_lo, exec_lo, s4
	s_cbranch_vccnz .LBB9_2172
; %bb.1977:
	v_add_co_u32 v0, s0, s8, v10
	v_add_co_ci_u32_e64 v1, null, s9, 0, s0
	s_cmp_lt_i32 s6, 11
	s_cbranch_scc1 .LBB9_2055
; %bb.1978:
	s_and_b32 s2, 0xffff, s6
	s_mov_b32 s5, -1
	s_mov_b32 s3, 0
	s_cmp_gt_i32 s2, 25
	s_mov_b32 s4, 0
	s_mov_b32 s0, 0
	s_cbranch_scc0 .LBB9_2011
; %bb.1979:
	s_cmp_gt_i32 s2, 28
	s_cbranch_scc0 .LBB9_1994
; %bb.1980:
	s_cmp_gt_i32 s2, 43
	;; [unrolled: 3-line block ×3, first 2 shown]
	s_cbranch_scc0 .LBB9_1984
; %bb.1982:
	s_mov_b32 s0, -1
	s_mov_b32 s5, 0
	s_cmp_eq_u32 s2, 46
	s_cbranch_scc0 .LBB9_1984
; %bb.1983:
	v_cvt_f32_f64_e32 v2, v[8:9]
	s_mov_b32 s0, 0
	s_mov_b32 s4, -1
	v_bfe_u32 v3, v2, 16, 1
	v_cmp_o_f32_e32 vcc_lo, v2, v2
	v_add3_u32 v2, v2, v3, 0x7fff
	v_mov_b32_e32 v3, 0x7fc0
	v_cndmask_b32_sdwa v2, v3, v2, vcc_lo dst_sel:DWORD dst_unused:UNUSED_PAD src0_sel:DWORD src1_sel:WORD_1
	global_store_dword v[0:1], v2, off
.LBB9_1984:
	s_and_b32 vcc_lo, exec_lo, s5
	s_cbranch_vccz .LBB9_1989
; %bb.1985:
	s_cmp_eq_u32 s2, 44
	s_mov_b32 s0, -1
	s_cbranch_scc0 .LBB9_1989
; %bb.1986:
	v_cvt_f32_f64_e32 v2, v[8:9]
	v_mov_b32_e32 v3, 0xff
	s_mov_b32 s4, exec_lo
	v_bfe_u32 v4, v2, 23, 8
	v_cmpx_ne_u32_e32 0xff, v4
	s_cbranch_execz .LBB9_1988
; %bb.1987:
	v_and_b32_e32 v3, 0x400000, v2
	v_and_or_b32 v4, 0x3fffff, v2, v4
	v_lshrrev_b32_e32 v2, 23, v2
	v_cmp_ne_u32_e32 vcc_lo, 0, v3
	v_cmp_ne_u32_e64 s0, 0, v4
	s_and_b32 s0, vcc_lo, s0
	v_cndmask_b32_e64 v3, 0, 1, s0
	v_add_nc_u32_e32 v3, v2, v3
.LBB9_1988:
	s_or_b32 exec_lo, exec_lo, s4
	s_mov_b32 s0, 0
	s_mov_b32 s4, -1
	global_store_byte v[0:1], v3, off
.LBB9_1989:
	s_mov_b32 s5, 0
.LBB9_1990:
	s_and_b32 vcc_lo, exec_lo, s5
	s_cbranch_vccz .LBB9_1993
; %bb.1991:
	s_cmp_eq_u32 s2, 29
	s_mov_b32 s0, -1
	s_cbranch_scc0 .LBB9_1993
; %bb.1992:
	v_trunc_f64_e32 v[2:3], v[8:9]
	s_mov_b32 s0, 0
	s_mov_b32 s4, -1
	v_ldexp_f64 v[4:5], v[2:3], 0xffffffe0
	v_floor_f64_e32 v[4:5], v[4:5]
	v_fma_f64 v[2:3], 0xc1f00000, v[4:5], v[2:3]
	v_cvt_u32_f64_e32 v4, v[4:5]
	v_cvt_u32_f64_e32 v3, v[2:3]
	global_store_dwordx2 v[0:1], v[3:4], off
.LBB9_1993:
	s_mov_b32 s5, 0
.LBB9_1994:
	s_and_b32 vcc_lo, exec_lo, s5
	s_cbranch_vccz .LBB9_2010
; %bb.1995:
	s_cmp_lt_i32 s2, 27
	s_mov_b32 s4, -1
	s_cbranch_scc1 .LBB9_2001
; %bb.1996:
	v_cvt_u32_f64_e32 v2, v[8:9]
	s_cmp_gt_i32 s2, 27
	s_cbranch_scc0 .LBB9_1998
; %bb.1997:
	s_mov_b32 s4, 0
	global_store_dword v[0:1], v2, off
.LBB9_1998:
	s_andn2_b32 vcc_lo, exec_lo, s4
	s_cbranch_vccnz .LBB9_2000
; %bb.1999:
	global_store_short v[0:1], v2, off
.LBB9_2000:
	s_mov_b32 s4, 0
.LBB9_2001:
	s_andn2_b32 vcc_lo, exec_lo, s4
	s_cbranch_vccnz .LBB9_2009
; %bb.2002:
	v_cvt_f32_f64_e32 v2, v[8:9]
	v_mov_b32_e32 v4, 0x80
	s_mov_b32 s4, exec_lo
	v_and_b32_e32 v3, 0x7fffffff, v2
	v_cmpx_gt_u32_e32 0x43800000, v3
	s_cbranch_execz .LBB9_2008
; %bb.2003:
	v_cmp_lt_u32_e32 vcc_lo, 0x3bffffff, v3
	s_mov_b32 s5, 0
                                        ; implicit-def: $vgpr3
	s_and_saveexec_b32 s7, vcc_lo
	s_xor_b32 s7, exec_lo, s7
	s_cbranch_execz .LBB9_2185
; %bb.2004:
	v_bfe_u32 v3, v2, 20, 1
	s_mov_b32 s5, exec_lo
	v_add3_u32 v3, v2, v3, 0x487ffff
	v_lshrrev_b32_e32 v3, 20, v3
	s_andn2_saveexec_b32 s7, s7
	s_cbranch_execnz .LBB9_2186
.LBB9_2005:
	s_or_b32 exec_lo, exec_lo, s7
	v_mov_b32_e32 v4, 0
	s_and_saveexec_b32 s7, s5
.LBB9_2006:
	v_lshrrev_b32_e32 v2, 24, v2
	v_and_or_b32 v4, 0x80, v2, v3
.LBB9_2007:
	s_or_b32 exec_lo, exec_lo, s7
.LBB9_2008:
	s_or_b32 exec_lo, exec_lo, s4
	global_store_byte v[0:1], v4, off
.LBB9_2009:
	s_mov_b32 s4, -1
.LBB9_2010:
	s_mov_b32 s5, 0
.LBB9_2011:
	s_and_b32 vcc_lo, exec_lo, s5
	s_cbranch_vccz .LBB9_2051
; %bb.2012:
	s_cmp_gt_i32 s2, 22
	s_mov_b32 s3, -1
	s_cbranch_scc0 .LBB9_2044
; %bb.2013:
	s_cmp_lt_i32 s2, 24
	s_cbranch_scc1 .LBB9_2033
; %bb.2014:
	s_cmp_gt_i32 s2, 24
	s_cbranch_scc0 .LBB9_2022
; %bb.2015:
	v_cvt_f32_f64_e32 v2, v[8:9]
	v_mov_b32_e32 v4, 0x80
	s_mov_b32 s3, exec_lo
	v_and_b32_e32 v3, 0x7fffffff, v2
	v_cmpx_gt_u32_e32 0x47800000, v3
	s_cbranch_execz .LBB9_2021
; %bb.2016:
	v_cmp_lt_u32_e32 vcc_lo, 0x37ffffff, v3
	s_mov_b32 s4, 0
                                        ; implicit-def: $vgpr3
	s_and_saveexec_b32 s5, vcc_lo
	s_xor_b32 s5, exec_lo, s5
	s_cbranch_execz .LBB9_2188
; %bb.2017:
	v_bfe_u32 v3, v2, 21, 1
	s_mov_b32 s4, exec_lo
	v_add3_u32 v3, v2, v3, 0x88fffff
	v_lshrrev_b32_e32 v3, 21, v3
	s_andn2_saveexec_b32 s5, s5
	s_cbranch_execnz .LBB9_2189
.LBB9_2018:
	s_or_b32 exec_lo, exec_lo, s5
	v_mov_b32_e32 v4, 0
	s_and_saveexec_b32 s5, s4
.LBB9_2019:
	v_lshrrev_b32_e32 v2, 24, v2
	v_and_or_b32 v4, 0x80, v2, v3
.LBB9_2020:
	s_or_b32 exec_lo, exec_lo, s5
.LBB9_2021:
	s_or_b32 exec_lo, exec_lo, s3
	s_mov_b32 s3, 0
	global_store_byte v[0:1], v4, off
.LBB9_2022:
	s_and_b32 vcc_lo, exec_lo, s3
	s_cbranch_vccz .LBB9_2032
; %bb.2023:
	v_cvt_f32_f64_e32 v2, v[8:9]
	s_mov_b32 s3, exec_lo
                                        ; implicit-def: $vgpr3
	v_and_b32_e32 v4, 0x7fffffff, v2
	v_cmpx_gt_u32_e32 0x43f00000, v4
	s_xor_b32 s3, exec_lo, s3
	s_cbranch_execz .LBB9_2029
; %bb.2024:
	s_mov_b32 s4, exec_lo
                                        ; implicit-def: $vgpr3
	v_cmpx_lt_u32_e32 0x3c7fffff, v4
	s_xor_b32 s4, exec_lo, s4
; %bb.2025:
	v_bfe_u32 v3, v2, 20, 1
	v_add3_u32 v3, v2, v3, 0x407ffff
	v_and_b32_e32 v4, 0xff00000, v3
	v_lshrrev_b32_e32 v3, 20, v3
	v_cmp_ne_u32_e32 vcc_lo, 0x7f00000, v4
	v_cndmask_b32_e32 v3, 0x7e, v3, vcc_lo
; %bb.2026:
	s_andn2_saveexec_b32 s4, s4
; %bb.2027:
	v_add_f32_e64 v3, 0x46800000, |v2|
; %bb.2028:
	s_or_b32 exec_lo, exec_lo, s4
                                        ; implicit-def: $vgpr4
.LBB9_2029:
	s_andn2_saveexec_b32 s3, s3
; %bb.2030:
	v_mov_b32_e32 v3, 0x7f
	v_cmp_lt_u32_e32 vcc_lo, 0x7f800000, v4
	v_cndmask_b32_e32 v3, 0x7e, v3, vcc_lo
; %bb.2031:
	s_or_b32 exec_lo, exec_lo, s3
	v_lshrrev_b32_e32 v2, 24, v2
	v_and_or_b32 v2, 0x80, v2, v3
	global_store_byte v[0:1], v2, off
.LBB9_2032:
	s_mov_b32 s3, 0
.LBB9_2033:
	s_andn2_b32 vcc_lo, exec_lo, s3
	s_cbranch_vccnz .LBB9_2043
; %bb.2034:
	v_cvt_f32_f64_e32 v2, v[8:9]
	s_mov_b32 s3, exec_lo
                                        ; implicit-def: $vgpr3
	v_and_b32_e32 v4, 0x7fffffff, v2
	v_cmpx_gt_u32_e32 0x47800000, v4
	s_xor_b32 s3, exec_lo, s3
	s_cbranch_execz .LBB9_2040
; %bb.2035:
	s_mov_b32 s4, exec_lo
                                        ; implicit-def: $vgpr3
	v_cmpx_lt_u32_e32 0x387fffff, v4
	s_xor_b32 s4, exec_lo, s4
; %bb.2036:
	v_bfe_u32 v3, v2, 21, 1
	v_add3_u32 v3, v2, v3, 0x80fffff
	v_lshrrev_b32_e32 v3, 21, v3
; %bb.2037:
	s_andn2_saveexec_b32 s4, s4
; %bb.2038:
	v_add_f32_e64 v3, 0x43000000, |v2|
; %bb.2039:
	s_or_b32 exec_lo, exec_lo, s4
                                        ; implicit-def: $vgpr4
.LBB9_2040:
	s_andn2_saveexec_b32 s3, s3
; %bb.2041:
	v_mov_b32_e32 v3, 0x7f
	v_cmp_lt_u32_e32 vcc_lo, 0x7f800000, v4
	v_cndmask_b32_e32 v3, 0x7c, v3, vcc_lo
; %bb.2042:
	s_or_b32 exec_lo, exec_lo, s3
	v_lshrrev_b32_e32 v2, 24, v2
	v_and_or_b32 v2, 0x80, v2, v3
	global_store_byte v[0:1], v2, off
.LBB9_2043:
	s_mov_b32 s3, 0
	s_mov_b32 s4, -1
.LBB9_2044:
	s_andn2_b32 vcc_lo, exec_lo, s3
	s_mov_b32 s3, 0
	s_cbranch_vccnz .LBB9_2051
; %bb.2045:
	s_cmp_gt_i32 s2, 14
	s_mov_b32 s3, -1
	s_cbranch_scc0 .LBB9_2049
; %bb.2046:
	s_cmp_eq_u32 s2, 15
	s_mov_b32 s0, -1
	s_cbranch_scc0 .LBB9_2048
; %bb.2047:
	v_cvt_f32_f64_e32 v2, v[8:9]
	s_mov_b32 s0, 0
	s_mov_b32 s4, -1
	v_bfe_u32 v3, v2, 16, 1
	v_cmp_o_f32_e32 vcc_lo, v2, v2
	v_add3_u32 v2, v2, v3, 0x7fff
	v_mov_b32_e32 v3, 0x7fc0
	v_cndmask_b32_sdwa v2, v3, v2, vcc_lo dst_sel:DWORD dst_unused:UNUSED_PAD src0_sel:DWORD src1_sel:WORD_1
	global_store_short v[0:1], v2, off
.LBB9_2048:
	s_mov_b32 s3, 0
.LBB9_2049:
	s_and_b32 vcc_lo, exec_lo, s3
	s_mov_b32 s3, 0
	s_cbranch_vccz .LBB9_2051
; %bb.2050:
	s_cmp_lg_u32 s2, 11
	s_mov_b32 s3, -1
	s_cselect_b32 s0, -1, 0
.LBB9_2051:
	s_and_b32 vcc_lo, exec_lo, s0
	s_cbranch_vccnz .LBB9_2187
; %bb.2052:
	s_andn2_b32 vcc_lo, exec_lo, s3
	s_cbranch_vccnz .LBB9_2054
.LBB9_2053:
	v_cmp_neq_f64_e32 vcc_lo, 0, v[8:9]
	s_mov_b32 s4, -1
	v_cndmask_b32_e64 v2, 0, 1, vcc_lo
	global_store_byte v[0:1], v2, off
.LBB9_2054:
	s_mov_b32 s0, 0
	s_branch .LBB9_2056
.LBB9_2055:
	s_mov_b32 s0, -1
	s_mov_b32 s4, 0
.LBB9_2056:
	s_and_b32 vcc_lo, exec_lo, s0
	s_cbranch_vccz .LBB9_2095
; %bb.2057:
	s_and_b32 s0, 0xffff, s6
	s_mov_b32 s2, -1
	s_cmp_lt_i32 s0, 5
	s_cbranch_scc1 .LBB9_2078
; %bb.2058:
	s_cmp_lt_i32 s0, 8
	s_cbranch_scc1 .LBB9_2068
; %bb.2059:
	;; [unrolled: 3-line block ×3, first 2 shown]
	s_cmp_gt_i32 s0, 9
	s_cbranch_scc0 .LBB9_2062
; %bb.2061:
	v_mov_b32_e32 v10, 0
	s_mov_b32 s2, 0
	v_mov_b32_e32 v11, v10
	global_store_dwordx4 v[0:1], v[8:11], off
.LBB9_2062:
	s_andn2_b32 vcc_lo, exec_lo, s2
	s_cbranch_vccnz .LBB9_2064
; %bb.2063:
	v_cvt_f32_f64_e32 v2, v[8:9]
	v_mov_b32_e32 v3, 0
	global_store_dwordx2 v[0:1], v[2:3], off
.LBB9_2064:
	s_mov_b32 s2, 0
.LBB9_2065:
	s_andn2_b32 vcc_lo, exec_lo, s2
	s_cbranch_vccnz .LBB9_2067
; %bb.2066:
	v_and_or_b32 v2, 0x1ff, v9, v8
	v_lshrrev_b32_e32 v3, 8, v9
	v_bfe_u32 v4, v9, 20, 11
	v_cmp_ne_u32_e32 vcc_lo, 0, v2
	v_sub_nc_u32_e32 v5, 0x3f1, v4
	v_add_nc_u32_e32 v4, 0xfffffc10, v4
	v_cndmask_b32_e64 v2, 0, 1, vcc_lo
	v_and_or_b32 v2, 0xffe, v3, v2
	v_med3_i32 v3, v5, 0, 13
	v_or_b32_e32 v5, 0x1000, v2
	v_lshrrev_b32_e32 v6, v3, v5
	v_lshlrev_b32_e32 v3, v3, v6
	v_cmp_ne_u32_e32 vcc_lo, v3, v5
	v_lshl_or_b32 v5, v4, 12, v2
	v_cndmask_b32_e64 v3, 0, 1, vcc_lo
	v_cmp_gt_i32_e32 vcc_lo, 1, v4
	v_or_b32_e32 v3, v6, v3
	v_cndmask_b32_e32 v3, v5, v3, vcc_lo
	v_and_b32_e32 v5, 7, v3
	v_lshrrev_b32_e32 v3, 2, v3
	v_cmp_lt_i32_e32 vcc_lo, 5, v5
	v_cndmask_b32_e64 v6, 0, 1, vcc_lo
	v_cmp_eq_u32_e32 vcc_lo, 3, v5
	v_cndmask_b32_e64 v5, 0, 1, vcc_lo
	v_cmp_ne_u32_e32 vcc_lo, 0, v2
	v_or_b32_e32 v5, v5, v6
	v_mov_b32_e32 v6, 0x7e00
	v_add_nc_u32_e32 v3, v3, v5
	v_cndmask_b32_e32 v2, 0x7c00, v6, vcc_lo
	v_cmp_gt_i32_e32 vcc_lo, 31, v4
	v_cndmask_b32_e32 v3, 0x7c00, v3, vcc_lo
	v_cmp_eq_u32_e32 vcc_lo, 0x40f, v4
	v_cndmask_b32_e32 v2, v3, v2, vcc_lo
	v_lshrrev_b32_e32 v3, 16, v9
	v_and_or_b32 v2, 0x8000, v3, v2
	v_and_b32_e32 v2, 0xffff, v2
	global_store_dword v[0:1], v2, off
.LBB9_2067:
	s_mov_b32 s2, 0
.LBB9_2068:
	s_andn2_b32 vcc_lo, exec_lo, s2
	s_cbranch_vccnz .LBB9_2077
; %bb.2069:
	s_cmp_lt_i32 s0, 6
	s_mov_b32 s2, -1
	s_cbranch_scc1 .LBB9_2075
; %bb.2070:
	s_cmp_gt_i32 s0, 6
	s_cbranch_scc0 .LBB9_2072
; %bb.2071:
	s_mov_b32 s2, 0
	global_store_dwordx2 v[0:1], v[8:9], off
.LBB9_2072:
	s_andn2_b32 vcc_lo, exec_lo, s2
	s_cbranch_vccnz .LBB9_2074
; %bb.2073:
	v_cvt_f32_f64_e32 v2, v[8:9]
	global_store_dword v[0:1], v2, off
.LBB9_2074:
	s_mov_b32 s2, 0
.LBB9_2075:
	s_andn2_b32 vcc_lo, exec_lo, s2
	s_cbranch_vccnz .LBB9_2077
; %bb.2076:
	v_and_or_b32 v2, 0x1ff, v9, v8
	v_lshrrev_b32_e32 v3, 8, v9
	v_bfe_u32 v4, v9, 20, 11
	v_cmp_ne_u32_e32 vcc_lo, 0, v2
	v_sub_nc_u32_e32 v5, 0x3f1, v4
	v_add_nc_u32_e32 v4, 0xfffffc10, v4
	v_cndmask_b32_e64 v2, 0, 1, vcc_lo
	v_and_or_b32 v2, 0xffe, v3, v2
	v_med3_i32 v3, v5, 0, 13
	v_or_b32_e32 v5, 0x1000, v2
	v_lshrrev_b32_e32 v6, v3, v5
	v_lshlrev_b32_e32 v3, v3, v6
	v_cmp_ne_u32_e32 vcc_lo, v3, v5
	v_lshl_or_b32 v5, v4, 12, v2
	v_cndmask_b32_e64 v3, 0, 1, vcc_lo
	v_cmp_gt_i32_e32 vcc_lo, 1, v4
	v_or_b32_e32 v3, v6, v3
	v_cndmask_b32_e32 v3, v5, v3, vcc_lo
	v_and_b32_e32 v5, 7, v3
	v_lshrrev_b32_e32 v3, 2, v3
	v_cmp_lt_i32_e32 vcc_lo, 5, v5
	v_cndmask_b32_e64 v6, 0, 1, vcc_lo
	v_cmp_eq_u32_e32 vcc_lo, 3, v5
	v_cndmask_b32_e64 v5, 0, 1, vcc_lo
	v_cmp_ne_u32_e32 vcc_lo, 0, v2
	v_or_b32_e32 v5, v5, v6
	v_mov_b32_e32 v6, 0x7e00
	v_add_nc_u32_e32 v3, v3, v5
	v_cndmask_b32_e32 v2, 0x7c00, v6, vcc_lo
	v_cmp_gt_i32_e32 vcc_lo, 31, v4
	v_cndmask_b32_e32 v3, 0x7c00, v3, vcc_lo
	v_cmp_eq_u32_e32 vcc_lo, 0x40f, v4
	v_cndmask_b32_e32 v2, v3, v2, vcc_lo
	v_lshrrev_b32_e32 v3, 16, v9
	v_and_or_b32 v2, 0x8000, v3, v2
	global_store_short v[0:1], v2, off
.LBB9_2077:
	s_mov_b32 s2, 0
.LBB9_2078:
	s_andn2_b32 vcc_lo, exec_lo, s2
	s_cbranch_vccnz .LBB9_2094
; %bb.2079:
	s_cmp_lt_i32 s0, 2
	s_mov_b32 s2, -1
	s_cbranch_scc1 .LBB9_2089
; %bb.2080:
	s_cmp_lt_i32 s0, 3
	s_cbranch_scc1 .LBB9_2086
; %bb.2081:
	s_cmp_gt_i32 s0, 3
	s_cbranch_scc0 .LBB9_2083
; %bb.2082:
	v_trunc_f64_e32 v[2:3], v[8:9]
	s_mov_b32 s2, 0
	v_ldexp_f64 v[4:5], v[2:3], 0xffffffe0
	v_floor_f64_e32 v[4:5], v[4:5]
	v_fma_f64 v[2:3], 0xc1f00000, v[4:5], v[2:3]
	v_cvt_i32_f64_e32 v4, v[4:5]
	v_cvt_u32_f64_e32 v3, v[2:3]
	global_store_dwordx2 v[0:1], v[3:4], off
.LBB9_2083:
	s_andn2_b32 vcc_lo, exec_lo, s2
	s_cbranch_vccnz .LBB9_2085
; %bb.2084:
	v_cvt_i32_f64_e32 v2, v[8:9]
	global_store_dword v[0:1], v2, off
.LBB9_2085:
	s_mov_b32 s2, 0
.LBB9_2086:
	s_andn2_b32 vcc_lo, exec_lo, s2
	s_cbranch_vccnz .LBB9_2088
; %bb.2087:
	v_cvt_i32_f64_e32 v2, v[8:9]
	global_store_short v[0:1], v2, off
.LBB9_2088:
	s_mov_b32 s2, 0
.LBB9_2089:
	s_andn2_b32 vcc_lo, exec_lo, s2
	s_cbranch_vccnz .LBB9_2094
; %bb.2090:
	s_cmp_gt_i32 s0, 0
	s_mov_b32 s0, -1
	s_cbranch_scc0 .LBB9_2092
; %bb.2091:
	v_cvt_i32_f64_e32 v2, v[8:9]
	s_mov_b32 s0, 0
	global_store_byte v[0:1], v2, off
.LBB9_2092:
	s_andn2_b32 vcc_lo, exec_lo, s0
	s_cbranch_vccnz .LBB9_2094
; %bb.2093:
	v_trunc_f64_e32 v[2:3], v[8:9]
	v_ldexp_f64 v[4:5], v[2:3], 0xffffffe0
	v_floor_f64_e32 v[4:5], v[4:5]
	v_fma_f64 v[2:3], 0xc1f00000, v[4:5], v[2:3]
	v_cvt_u32_f64_e32 v2, v[2:3]
	global_store_byte v[0:1], v2, off
.LBB9_2094:
	s_mov_b32 s4, -1
.LBB9_2095:
	s_andn2_b32 vcc_lo, exec_lo, s4
	s_cbranch_vccnz .LBB9_2172
; %bb.2096:
	v_add_co_u32 v0, s0, s8, v14
	v_add_co_ci_u32_e64 v1, null, s9, 0, s0
	s_cmp_lt_i32 s6, 11
	s_cbranch_scc1 .LBB9_2173
; %bb.2097:
	s_and_b32 s2, 0xffff, s6
	s_mov_b32 s4, -1
	s_mov_b32 s3, 0
	s_cmp_gt_i32 s2, 25
	s_mov_b32 s0, 0
	s_cbranch_scc0 .LBB9_2130
; %bb.2098:
	s_cmp_gt_i32 s2, 28
	s_cbranch_scc0 .LBB9_2114
; %bb.2099:
	s_cmp_gt_i32 s2, 43
	;; [unrolled: 3-line block ×3, first 2 shown]
	s_cbranch_scc0 .LBB9_2104
; %bb.2101:
	s_cmp_eq_u32 s2, 46
	s_mov_b32 s0, -1
	s_cbranch_scc0 .LBB9_2103
; %bb.2102:
	v_cvt_f32_f64_e32 v2, v[12:13]
	s_mov_b32 s0, 0
	v_bfe_u32 v3, v2, 16, 1
	v_cmp_o_f32_e32 vcc_lo, v2, v2
	v_add3_u32 v2, v2, v3, 0x7fff
	v_mov_b32_e32 v3, 0x7fc0
	v_cndmask_b32_sdwa v2, v3, v2, vcc_lo dst_sel:DWORD dst_unused:UNUSED_PAD src0_sel:DWORD src1_sel:WORD_1
	global_store_dword v[0:1], v2, off
.LBB9_2103:
	s_mov_b32 s4, 0
.LBB9_2104:
	s_and_b32 vcc_lo, exec_lo, s4
	s_cbranch_vccz .LBB9_2109
; %bb.2105:
	s_cmp_eq_u32 s2, 44
	s_mov_b32 s0, -1
	s_cbranch_scc0 .LBB9_2109
; %bb.2106:
	v_cvt_f32_f64_e32 v2, v[12:13]
	v_mov_b32_e32 v3, 0xff
	s_mov_b32 s4, exec_lo
	v_bfe_u32 v4, v2, 23, 8
	v_cmpx_ne_u32_e32 0xff, v4
	s_cbranch_execz .LBB9_2108
; %bb.2107:
	v_and_b32_e32 v3, 0x400000, v2
	v_and_or_b32 v4, 0x3fffff, v2, v4
	v_lshrrev_b32_e32 v2, 23, v2
	v_cmp_ne_u32_e32 vcc_lo, 0, v3
	v_cmp_ne_u32_e64 s0, 0, v4
	s_and_b32 s0, vcc_lo, s0
	v_cndmask_b32_e64 v3, 0, 1, s0
	v_add_nc_u32_e32 v3, v2, v3
.LBB9_2108:
	s_or_b32 exec_lo, exec_lo, s4
	s_mov_b32 s0, 0
	global_store_byte v[0:1], v3, off
.LBB9_2109:
	s_mov_b32 s4, 0
.LBB9_2110:
	s_and_b32 vcc_lo, exec_lo, s4
	s_cbranch_vccz .LBB9_2113
; %bb.2111:
	s_cmp_eq_u32 s2, 29
	s_mov_b32 s0, -1
	s_cbranch_scc0 .LBB9_2113
; %bb.2112:
	v_trunc_f64_e32 v[2:3], v[12:13]
	s_mov_b32 s0, 0
	v_ldexp_f64 v[4:5], v[2:3], 0xffffffe0
	v_floor_f64_e32 v[4:5], v[4:5]
	v_fma_f64 v[2:3], 0xc1f00000, v[4:5], v[2:3]
	v_cvt_u32_f64_e32 v4, v[4:5]
	v_cvt_u32_f64_e32 v3, v[2:3]
	global_store_dwordx2 v[0:1], v[3:4], off
.LBB9_2113:
	s_mov_b32 s4, 0
.LBB9_2114:
	s_and_b32 vcc_lo, exec_lo, s4
	s_cbranch_vccz .LBB9_2129
; %bb.2115:
	s_cmp_lt_i32 s2, 27
	s_mov_b32 s4, -1
	s_cbranch_scc1 .LBB9_2121
; %bb.2116:
	s_cmp_gt_i32 s2, 27
	s_cbranch_scc0 .LBB9_2118
; %bb.2117:
	v_cvt_u32_f64_e32 v2, v[12:13]
	s_mov_b32 s4, 0
	global_store_dword v[0:1], v2, off
.LBB9_2118:
	s_andn2_b32 vcc_lo, exec_lo, s4
	s_cbranch_vccnz .LBB9_2120
; %bb.2119:
	v_cvt_u32_f64_e32 v2, v[12:13]
	global_store_short v[0:1], v2, off
.LBB9_2120:
	s_mov_b32 s4, 0
.LBB9_2121:
	s_andn2_b32 vcc_lo, exec_lo, s4
	s_cbranch_vccnz .LBB9_2129
; %bb.2122:
	v_cvt_f32_f64_e32 v2, v[12:13]
	v_mov_b32_e32 v4, 0x80
	s_mov_b32 s4, exec_lo
	v_and_b32_e32 v3, 0x7fffffff, v2
	v_cmpx_gt_u32_e32 0x43800000, v3
	s_cbranch_execz .LBB9_2128
; %bb.2123:
	v_cmp_lt_u32_e32 vcc_lo, 0x3bffffff, v3
	s_mov_b32 s5, 0
                                        ; implicit-def: $vgpr3
	s_and_saveexec_b32 s7, vcc_lo
	s_xor_b32 s7, exec_lo, s7
	s_cbranch_execz .LBB9_2190
; %bb.2124:
	v_bfe_u32 v3, v2, 20, 1
	s_mov_b32 s5, exec_lo
	v_add3_u32 v3, v2, v3, 0x487ffff
	v_lshrrev_b32_e32 v3, 20, v3
	s_andn2_saveexec_b32 s7, s7
	s_cbranch_execnz .LBB9_2191
.LBB9_2125:
	s_or_b32 exec_lo, exec_lo, s7
	v_mov_b32_e32 v4, 0
	s_and_saveexec_b32 s7, s5
.LBB9_2126:
	v_lshrrev_b32_e32 v2, 24, v2
	v_and_or_b32 v4, 0x80, v2, v3
.LBB9_2127:
	s_or_b32 exec_lo, exec_lo, s7
.LBB9_2128:
	s_or_b32 exec_lo, exec_lo, s4
	global_store_byte v[0:1], v4, off
.LBB9_2129:
	s_mov_b32 s4, 0
.LBB9_2130:
	s_and_b32 vcc_lo, exec_lo, s4
	s_cbranch_vccz .LBB9_2170
; %bb.2131:
	s_cmp_gt_i32 s2, 22
	s_mov_b32 s3, -1
	s_cbranch_scc0 .LBB9_2163
; %bb.2132:
	s_cmp_lt_i32 s2, 24
	s_cbranch_scc1 .LBB9_2152
; %bb.2133:
	s_cmp_gt_i32 s2, 24
	s_cbranch_scc0 .LBB9_2141
; %bb.2134:
	v_cvt_f32_f64_e32 v2, v[12:13]
	v_mov_b32_e32 v4, 0x80
	s_mov_b32 s3, exec_lo
	v_and_b32_e32 v3, 0x7fffffff, v2
	v_cmpx_gt_u32_e32 0x47800000, v3
	s_cbranch_execz .LBB9_2140
; %bb.2135:
	v_cmp_lt_u32_e32 vcc_lo, 0x37ffffff, v3
	s_mov_b32 s4, 0
                                        ; implicit-def: $vgpr3
	s_and_saveexec_b32 s5, vcc_lo
	s_xor_b32 s5, exec_lo, s5
	s_cbranch_execz .LBB9_2193
; %bb.2136:
	v_bfe_u32 v3, v2, 21, 1
	s_mov_b32 s4, exec_lo
	v_add3_u32 v3, v2, v3, 0x88fffff
	v_lshrrev_b32_e32 v3, 21, v3
	s_andn2_saveexec_b32 s5, s5
	s_cbranch_execnz .LBB9_2194
.LBB9_2137:
	s_or_b32 exec_lo, exec_lo, s5
	v_mov_b32_e32 v4, 0
	s_and_saveexec_b32 s5, s4
.LBB9_2138:
	v_lshrrev_b32_e32 v2, 24, v2
	v_and_or_b32 v4, 0x80, v2, v3
.LBB9_2139:
	s_or_b32 exec_lo, exec_lo, s5
.LBB9_2140:
	s_or_b32 exec_lo, exec_lo, s3
	s_mov_b32 s3, 0
	global_store_byte v[0:1], v4, off
.LBB9_2141:
	s_and_b32 vcc_lo, exec_lo, s3
	s_cbranch_vccz .LBB9_2151
; %bb.2142:
	v_cvt_f32_f64_e32 v2, v[12:13]
	s_mov_b32 s3, exec_lo
                                        ; implicit-def: $vgpr3
	v_and_b32_e32 v4, 0x7fffffff, v2
	v_cmpx_gt_u32_e32 0x43f00000, v4
	s_xor_b32 s3, exec_lo, s3
	s_cbranch_execz .LBB9_2148
; %bb.2143:
	s_mov_b32 s4, exec_lo
                                        ; implicit-def: $vgpr3
	v_cmpx_lt_u32_e32 0x3c7fffff, v4
	s_xor_b32 s4, exec_lo, s4
; %bb.2144:
	v_bfe_u32 v3, v2, 20, 1
	v_add3_u32 v3, v2, v3, 0x407ffff
	v_and_b32_e32 v4, 0xff00000, v3
	v_lshrrev_b32_e32 v3, 20, v3
	v_cmp_ne_u32_e32 vcc_lo, 0x7f00000, v4
	v_cndmask_b32_e32 v3, 0x7e, v3, vcc_lo
; %bb.2145:
	s_andn2_saveexec_b32 s4, s4
; %bb.2146:
	v_add_f32_e64 v3, 0x46800000, |v2|
; %bb.2147:
	s_or_b32 exec_lo, exec_lo, s4
                                        ; implicit-def: $vgpr4
.LBB9_2148:
	s_andn2_saveexec_b32 s3, s3
; %bb.2149:
	v_mov_b32_e32 v3, 0x7f
	v_cmp_lt_u32_e32 vcc_lo, 0x7f800000, v4
	v_cndmask_b32_e32 v3, 0x7e, v3, vcc_lo
; %bb.2150:
	s_or_b32 exec_lo, exec_lo, s3
	v_lshrrev_b32_e32 v2, 24, v2
	v_and_or_b32 v2, 0x80, v2, v3
	global_store_byte v[0:1], v2, off
.LBB9_2151:
	s_mov_b32 s3, 0
.LBB9_2152:
	s_andn2_b32 vcc_lo, exec_lo, s3
	s_cbranch_vccnz .LBB9_2162
; %bb.2153:
	v_cvt_f32_f64_e32 v2, v[12:13]
	s_mov_b32 s3, exec_lo
                                        ; implicit-def: $vgpr3
	v_and_b32_e32 v4, 0x7fffffff, v2
	v_cmpx_gt_u32_e32 0x47800000, v4
	s_xor_b32 s3, exec_lo, s3
	s_cbranch_execz .LBB9_2159
; %bb.2154:
	s_mov_b32 s4, exec_lo
                                        ; implicit-def: $vgpr3
	v_cmpx_lt_u32_e32 0x387fffff, v4
	s_xor_b32 s4, exec_lo, s4
; %bb.2155:
	v_bfe_u32 v3, v2, 21, 1
	v_add3_u32 v3, v2, v3, 0x80fffff
	v_lshrrev_b32_e32 v3, 21, v3
; %bb.2156:
	s_andn2_saveexec_b32 s4, s4
; %bb.2157:
	v_add_f32_e64 v3, 0x43000000, |v2|
; %bb.2158:
	s_or_b32 exec_lo, exec_lo, s4
                                        ; implicit-def: $vgpr4
.LBB9_2159:
	s_andn2_saveexec_b32 s3, s3
; %bb.2160:
	v_mov_b32_e32 v3, 0x7f
	v_cmp_lt_u32_e32 vcc_lo, 0x7f800000, v4
	v_cndmask_b32_e32 v3, 0x7c, v3, vcc_lo
; %bb.2161:
	s_or_b32 exec_lo, exec_lo, s3
	v_lshrrev_b32_e32 v2, 24, v2
	v_and_or_b32 v2, 0x80, v2, v3
	global_store_byte v[0:1], v2, off
.LBB9_2162:
	s_mov_b32 s3, 0
.LBB9_2163:
	s_andn2_b32 vcc_lo, exec_lo, s3
	s_mov_b32 s3, 0
	s_cbranch_vccnz .LBB9_2170
; %bb.2164:
	s_cmp_gt_i32 s2, 14
	s_mov_b32 s3, -1
	s_cbranch_scc0 .LBB9_2168
; %bb.2165:
	s_cmp_eq_u32 s2, 15
	s_mov_b32 s0, -1
	s_cbranch_scc0 .LBB9_2167
; %bb.2166:
	v_cvt_f32_f64_e32 v2, v[12:13]
	s_mov_b32 s0, 0
	v_bfe_u32 v3, v2, 16, 1
	v_cmp_o_f32_e32 vcc_lo, v2, v2
	v_add3_u32 v2, v2, v3, 0x7fff
	v_mov_b32_e32 v3, 0x7fc0
	v_cndmask_b32_sdwa v2, v3, v2, vcc_lo dst_sel:DWORD dst_unused:UNUSED_PAD src0_sel:DWORD src1_sel:WORD_1
	global_store_short v[0:1], v2, off
.LBB9_2167:
	s_mov_b32 s3, 0
.LBB9_2168:
	s_and_b32 vcc_lo, exec_lo, s3
	s_mov_b32 s3, 0
	s_cbranch_vccz .LBB9_2170
; %bb.2169:
	s_cmp_lg_u32 s2, 11
	s_mov_b32 s3, -1
	s_cselect_b32 s0, -1, 0
.LBB9_2170:
	s_and_b32 vcc_lo, exec_lo, s0
	s_cbranch_vccnz .LBB9_2192
.LBB9_2171:
	s_mov_b32 s0, 0
	s_branch .LBB9_1773
.LBB9_2172:
	s_mov_b32 s0, 0
	s_mov_b32 s3, 0
                                        ; implicit-def: $vgpr0_vgpr1
                                        ; implicit-def: $sgpr6
	s_branch .LBB9_1773
.LBB9_2173:
	s_mov_b32 s3, 0
	s_mov_b32 s0, -1
	s_branch .LBB9_1773
.LBB9_2174:
	s_or_b32 s1, s1, exec_lo
	s_trap 2
	s_cbranch_execz .LBB9_1638
	s_branch .LBB9_1639
.LBB9_2175:
	s_andn2_saveexec_b32 s10, s10
	s_cbranch_execz .LBB9_1722
.LBB9_2176:
	v_add_f32_e64 v3, 0x46000000, |v2|
	s_andn2_b32 s7, s7, exec_lo
	v_and_b32_e32 v3, 0xff, v3
	v_cmp_ne_u32_e32 vcc_lo, 0, v3
	s_and_b32 s11, vcc_lo, exec_lo
	s_or_b32 s7, s7, s11
	s_or_b32 exec_lo, exec_lo, s10
	v_mov_b32_e32 v7, 0
	s_and_saveexec_b32 s10, s7
	s_cbranch_execnz .LBB9_1723
	s_branch .LBB9_1724
.LBB9_2177:
	s_or_b32 s1, s1, exec_lo
	s_trap 2
	s_cbranch_execz .LBB9_1770
	s_branch .LBB9_1771
.LBB9_2178:
	s_andn2_saveexec_b32 s7, s7
	s_cbranch_execz .LBB9_1735
.LBB9_2179:
	v_add_f32_e64 v3, 0x42800000, |v2|
	s_andn2_b32 s6, s6, exec_lo
	v_and_b32_e32 v3, 0xff, v3
	v_cmp_ne_u32_e32 vcc_lo, 0, v3
	s_and_b32 s10, vcc_lo, exec_lo
	s_or_b32 s6, s6, s10
	s_or_b32 exec_lo, exec_lo, s7
	v_mov_b32_e32 v7, 0
	s_and_saveexec_b32 s7, s6
	s_cbranch_execnz .LBB9_1736
	s_branch .LBB9_1737
.LBB9_2180:
	s_andn2_saveexec_b32 s7, s7
	s_cbranch_execz .LBB9_1886
.LBB9_2181:
	v_add_f32_e64 v3, 0x46000000, |v2|
	s_andn2_b32 s5, s5, exec_lo
	v_and_b32_e32 v3, 0xff, v3
	v_cmp_ne_u32_e32 vcc_lo, 0, v3
	s_and_b32 s10, vcc_lo, exec_lo
	s_or_b32 s5, s5, s10
	s_or_b32 exec_lo, exec_lo, s7
	v_mov_b32_e32 v6, 0
	s_and_saveexec_b32 s7, s5
	s_cbranch_execnz .LBB9_1887
	s_branch .LBB9_1888
.LBB9_2182:
	s_or_b32 s1, s1, exec_lo
	s_trap 2
	s_cbranch_execz .LBB9_1934
	s_branch .LBB9_1935
.LBB9_2183:
	s_andn2_saveexec_b32 s5, s5
	s_cbranch_execz .LBB9_1899
.LBB9_2184:
	v_add_f32_e64 v3, 0x42800000, |v2|
	s_andn2_b32 s4, s4, exec_lo
	v_and_b32_e32 v3, 0xff, v3
	v_cmp_ne_u32_e32 vcc_lo, 0, v3
	s_and_b32 s7, vcc_lo, exec_lo
	s_or_b32 s4, s4, s7
	s_or_b32 exec_lo, exec_lo, s5
	v_mov_b32_e32 v6, 0
	s_and_saveexec_b32 s5, s4
	s_cbranch_execnz .LBB9_1900
	s_branch .LBB9_1901
.LBB9_2185:
	s_andn2_saveexec_b32 s7, s7
	s_cbranch_execz .LBB9_2005
.LBB9_2186:
	v_add_f32_e64 v3, 0x46000000, |v2|
	s_andn2_b32 s5, s5, exec_lo
	v_and_b32_e32 v3, 0xff, v3
	v_cmp_ne_u32_e32 vcc_lo, 0, v3
	s_and_b32 s10, vcc_lo, exec_lo
	s_or_b32 s5, s5, s10
	s_or_b32 exec_lo, exec_lo, s7
	v_mov_b32_e32 v4, 0
	s_and_saveexec_b32 s7, s5
	s_cbranch_execnz .LBB9_2006
	s_branch .LBB9_2007
.LBB9_2187:
	s_or_b32 s1, s1, exec_lo
	s_trap 2
	s_cbranch_execz .LBB9_2053
	s_branch .LBB9_2054
.LBB9_2188:
	s_andn2_saveexec_b32 s5, s5
	s_cbranch_execz .LBB9_2018
.LBB9_2189:
	v_add_f32_e64 v3, 0x42800000, |v2|
	s_andn2_b32 s4, s4, exec_lo
	v_and_b32_e32 v3, 0xff, v3
	v_cmp_ne_u32_e32 vcc_lo, 0, v3
	s_and_b32 s7, vcc_lo, exec_lo
	s_or_b32 s4, s4, s7
	s_or_b32 exec_lo, exec_lo, s5
	v_mov_b32_e32 v4, 0
	s_and_saveexec_b32 s5, s4
	s_cbranch_execnz .LBB9_2019
	s_branch .LBB9_2020
.LBB9_2190:
	s_andn2_saveexec_b32 s7, s7
	s_cbranch_execz .LBB9_2125
.LBB9_2191:
	v_add_f32_e64 v3, 0x46000000, |v2|
	s_andn2_b32 s5, s5, exec_lo
	v_and_b32_e32 v3, 0xff, v3
	v_cmp_ne_u32_e32 vcc_lo, 0, v3
	s_and_b32 s8, vcc_lo, exec_lo
	s_or_b32 s5, s5, s8
	s_or_b32 exec_lo, exec_lo, s7
	v_mov_b32_e32 v4, 0
	s_and_saveexec_b32 s7, s5
	s_cbranch_execnz .LBB9_2126
	s_branch .LBB9_2127
.LBB9_2192:
	s_mov_b32 s3, 0
	s_or_b32 s1, s1, exec_lo
	s_trap 2
	s_branch .LBB9_2171
.LBB9_2193:
	s_andn2_saveexec_b32 s5, s5
	s_cbranch_execz .LBB9_2137
.LBB9_2194:
	v_add_f32_e64 v3, 0x42800000, |v2|
	s_andn2_b32 s4, s4, exec_lo
	v_and_b32_e32 v3, 0xff, v3
	v_cmp_ne_u32_e32 vcc_lo, 0, v3
	s_and_b32 s7, vcc_lo, exec_lo
	s_or_b32 s4, s4, s7
	s_or_b32 exec_lo, exec_lo, s5
	v_mov_b32_e32 v4, 0
	s_and_saveexec_b32 s5, s4
	s_cbranch_execnz .LBB9_2138
	s_branch .LBB9_2139
	.section	.rodata,"a",@progbits
	.p2align	6, 0x0
	.amdhsa_kernel _ZN2at6native32elementwise_kernel_manual_unrollILi128ELi4EZNS0_15gpu_kernel_implIZZZNS0_12_GLOBAL__N_130modified_bessel_i0_kernel_cudaERNS_18TensorIteratorBaseEENKUlvE_clEvENKUlvE_clEvEUldE_EEvS5_RKT_EUlibE0_EEviT1_
		.amdhsa_group_segment_fixed_size 0
		.amdhsa_private_segment_fixed_size 0
		.amdhsa_kernarg_size 360
		.amdhsa_user_sgpr_count 6
		.amdhsa_user_sgpr_private_segment_buffer 1
		.amdhsa_user_sgpr_dispatch_ptr 0
		.amdhsa_user_sgpr_queue_ptr 0
		.amdhsa_user_sgpr_kernarg_segment_ptr 1
		.amdhsa_user_sgpr_dispatch_id 0
		.amdhsa_user_sgpr_flat_scratch_init 0
		.amdhsa_user_sgpr_private_segment_size 0
		.amdhsa_wavefront_size32 1
		.amdhsa_uses_dynamic_stack 0
		.amdhsa_system_sgpr_private_segment_wavefront_offset 0
		.amdhsa_system_sgpr_workgroup_id_x 1
		.amdhsa_system_sgpr_workgroup_id_y 0
		.amdhsa_system_sgpr_workgroup_id_z 0
		.amdhsa_system_sgpr_workgroup_info 0
		.amdhsa_system_vgpr_workitem_id 0
		.amdhsa_next_free_vgpr 35
		.amdhsa_next_free_sgpr 68
		.amdhsa_reserve_vcc 1
		.amdhsa_reserve_flat_scratch 0
		.amdhsa_float_round_mode_32 0
		.amdhsa_float_round_mode_16_64 0
		.amdhsa_float_denorm_mode_32 3
		.amdhsa_float_denorm_mode_16_64 3
		.amdhsa_dx10_clamp 1
		.amdhsa_ieee_mode 1
		.amdhsa_fp16_overflow 0
		.amdhsa_workgroup_processor_mode 1
		.amdhsa_memory_ordered 1
		.amdhsa_forward_progress 1
		.amdhsa_shared_vgpr_count 0
		.amdhsa_exception_fp_ieee_invalid_op 0
		.amdhsa_exception_fp_denorm_src 0
		.amdhsa_exception_fp_ieee_div_zero 0
		.amdhsa_exception_fp_ieee_overflow 0
		.amdhsa_exception_fp_ieee_underflow 0
		.amdhsa_exception_fp_ieee_inexact 0
		.amdhsa_exception_int_div_zero 0
	.end_amdhsa_kernel
	.section	.text._ZN2at6native32elementwise_kernel_manual_unrollILi128ELi4EZNS0_15gpu_kernel_implIZZZNS0_12_GLOBAL__N_130modified_bessel_i0_kernel_cudaERNS_18TensorIteratorBaseEENKUlvE_clEvENKUlvE_clEvEUldE_EEvS5_RKT_EUlibE0_EEviT1_,"axG",@progbits,_ZN2at6native32elementwise_kernel_manual_unrollILi128ELi4EZNS0_15gpu_kernel_implIZZZNS0_12_GLOBAL__N_130modified_bessel_i0_kernel_cudaERNS_18TensorIteratorBaseEENKUlvE_clEvENKUlvE_clEvEUldE_EEvS5_RKT_EUlibE0_EEviT1_,comdat
.Lfunc_end9:
	.size	_ZN2at6native32elementwise_kernel_manual_unrollILi128ELi4EZNS0_15gpu_kernel_implIZZZNS0_12_GLOBAL__N_130modified_bessel_i0_kernel_cudaERNS_18TensorIteratorBaseEENKUlvE_clEvENKUlvE_clEvEUldE_EEvS5_RKT_EUlibE0_EEviT1_, .Lfunc_end9-_ZN2at6native32elementwise_kernel_manual_unrollILi128ELi4EZNS0_15gpu_kernel_implIZZZNS0_12_GLOBAL__N_130modified_bessel_i0_kernel_cudaERNS_18TensorIteratorBaseEENKUlvE_clEvENKUlvE_clEvEUldE_EEvS5_RKT_EUlibE0_EEviT1_
                                        ; -- End function
	.set _ZN2at6native32elementwise_kernel_manual_unrollILi128ELi4EZNS0_15gpu_kernel_implIZZZNS0_12_GLOBAL__N_130modified_bessel_i0_kernel_cudaERNS_18TensorIteratorBaseEENKUlvE_clEvENKUlvE_clEvEUldE_EEvS5_RKT_EUlibE0_EEviT1_.num_vgpr, 35
	.set _ZN2at6native32elementwise_kernel_manual_unrollILi128ELi4EZNS0_15gpu_kernel_implIZZZNS0_12_GLOBAL__N_130modified_bessel_i0_kernel_cudaERNS_18TensorIteratorBaseEENKUlvE_clEvENKUlvE_clEvEUldE_EEvS5_RKT_EUlibE0_EEviT1_.num_agpr, 0
	.set _ZN2at6native32elementwise_kernel_manual_unrollILi128ELi4EZNS0_15gpu_kernel_implIZZZNS0_12_GLOBAL__N_130modified_bessel_i0_kernel_cudaERNS_18TensorIteratorBaseEENKUlvE_clEvENKUlvE_clEvEUldE_EEvS5_RKT_EUlibE0_EEviT1_.numbered_sgpr, 68
	.set _ZN2at6native32elementwise_kernel_manual_unrollILi128ELi4EZNS0_15gpu_kernel_implIZZZNS0_12_GLOBAL__N_130modified_bessel_i0_kernel_cudaERNS_18TensorIteratorBaseEENKUlvE_clEvENKUlvE_clEvEUldE_EEvS5_RKT_EUlibE0_EEviT1_.num_named_barrier, 0
	.set _ZN2at6native32elementwise_kernel_manual_unrollILi128ELi4EZNS0_15gpu_kernel_implIZZZNS0_12_GLOBAL__N_130modified_bessel_i0_kernel_cudaERNS_18TensorIteratorBaseEENKUlvE_clEvENKUlvE_clEvEUldE_EEvS5_RKT_EUlibE0_EEviT1_.private_seg_size, 0
	.set _ZN2at6native32elementwise_kernel_manual_unrollILi128ELi4EZNS0_15gpu_kernel_implIZZZNS0_12_GLOBAL__N_130modified_bessel_i0_kernel_cudaERNS_18TensorIteratorBaseEENKUlvE_clEvENKUlvE_clEvEUldE_EEvS5_RKT_EUlibE0_EEviT1_.uses_vcc, 1
	.set _ZN2at6native32elementwise_kernel_manual_unrollILi128ELi4EZNS0_15gpu_kernel_implIZZZNS0_12_GLOBAL__N_130modified_bessel_i0_kernel_cudaERNS_18TensorIteratorBaseEENKUlvE_clEvENKUlvE_clEvEUldE_EEvS5_RKT_EUlibE0_EEviT1_.uses_flat_scratch, 0
	.set _ZN2at6native32elementwise_kernel_manual_unrollILi128ELi4EZNS0_15gpu_kernel_implIZZZNS0_12_GLOBAL__N_130modified_bessel_i0_kernel_cudaERNS_18TensorIteratorBaseEENKUlvE_clEvENKUlvE_clEvEUldE_EEvS5_RKT_EUlibE0_EEviT1_.has_dyn_sized_stack, 0
	.set _ZN2at6native32elementwise_kernel_manual_unrollILi128ELi4EZNS0_15gpu_kernel_implIZZZNS0_12_GLOBAL__N_130modified_bessel_i0_kernel_cudaERNS_18TensorIteratorBaseEENKUlvE_clEvENKUlvE_clEvEUldE_EEvS5_RKT_EUlibE0_EEviT1_.has_recursion, 0
	.set _ZN2at6native32elementwise_kernel_manual_unrollILi128ELi4EZNS0_15gpu_kernel_implIZZZNS0_12_GLOBAL__N_130modified_bessel_i0_kernel_cudaERNS_18TensorIteratorBaseEENKUlvE_clEvENKUlvE_clEvEUldE_EEvS5_RKT_EUlibE0_EEviT1_.has_indirect_call, 0
	.section	.AMDGPU.csdata,"",@progbits
; Kernel info:
; codeLenInByte = 63032
; TotalNumSgprs: 70
; NumVgprs: 35
; ScratchSize: 0
; MemoryBound: 1
; FloatMode: 240
; IeeeMode: 1
; LDSByteSize: 0 bytes/workgroup (compile time only)
; SGPRBlocks: 0
; VGPRBlocks: 4
; NumSGPRsForWavesPerEU: 70
; NumVGPRsForWavesPerEU: 35
; Occupancy: 16
; WaveLimiterHint : 1
; COMPUTE_PGM_RSRC2:SCRATCH_EN: 0
; COMPUTE_PGM_RSRC2:USER_SGPR: 6
; COMPUTE_PGM_RSRC2:TRAP_HANDLER: 0
; COMPUTE_PGM_RSRC2:TGID_X_EN: 1
; COMPUTE_PGM_RSRC2:TGID_Y_EN: 0
; COMPUTE_PGM_RSRC2:TGID_Z_EN: 0
; COMPUTE_PGM_RSRC2:TIDIG_COMP_CNT: 0
	.text
	.p2align	2                               ; -- Begin function _ZN2at6native25elementwise_kernel_helperILb0EZZZNS0_12_GLOBAL__N_130modified_bessel_i0_kernel_cudaERNS_18TensorIteratorBaseEENKUlvE_clEvENKUlvE0_clEvEUlfE_NS0_6memory8policies11unroll_baseILi256ESt5arrayIPcLm2EE23TrivialOffsetCalculatorILi1EjESF_NS8_15LoadWithoutCastENS8_16StoreWithoutCastELi4ELi1EEEEEvT0_T1_
	.type	_ZN2at6native25elementwise_kernel_helperILb0EZZZNS0_12_GLOBAL__N_130modified_bessel_i0_kernel_cudaERNS_18TensorIteratorBaseEENKUlvE_clEvENKUlvE0_clEvEUlfE_NS0_6memory8policies11unroll_baseILi256ESt5arrayIPcLm2EE23TrivialOffsetCalculatorILi1EjESF_NS8_15LoadWithoutCastENS8_16StoreWithoutCastELi4ELi1EEEEEvT0_T1_,@function
_ZN2at6native25elementwise_kernel_helperILb0EZZZNS0_12_GLOBAL__N_130modified_bessel_i0_kernel_cudaERNS_18TensorIteratorBaseEENKUlvE_clEvENKUlvE0_clEvEUlfE_NS0_6memory8policies11unroll_baseILi256ESt5arrayIPcLm2EE23TrivialOffsetCalculatorILi1EjESF_NS8_15LoadWithoutCastENS8_16StoreWithoutCastELi4ELi1EEEEEvT0_T1_: ; @_ZN2at6native25elementwise_kernel_helperILb0EZZZNS0_12_GLOBAL__N_130modified_bessel_i0_kernel_cudaERNS_18TensorIteratorBaseEENKUlvE_clEvENKUlvE0_clEvEUlfE_NS0_6memory8policies11unroll_baseILi256ESt5arrayIPcLm2EE23TrivialOffsetCalculatorILi1EjESF_NS8_15LoadWithoutCastENS8_16StoreWithoutCastELi4ELi1EEEEEvT0_T1_
; %bb.0:
	s_waitcnt vmcnt(0) expcnt(0) lgkmcnt(0)
	v_and_b32_e32 v7, 0x3ff, v31
	s_lshl_b32 s6, s12, 10
	v_mov_b32_e32 v12, 0
	v_mov_b32_e32 v13, 0
	v_cmp_lt_i32_e64 s4, v7, v4
	v_or_b32_e32 v5, s6, v7
	v_add_nc_u32_e32 v8, 0x100, v7
	v_mov_b32_e32 v10, v7
	s_and_saveexec_b32 s5, s4
	s_cbranch_execz .LBB10_2
; %bb.1:
	v_mov_b32_e32 v6, 0
	v_lshlrev_b64 v[9:10], 2, v[5:6]
	v_add_co_u32 v9, vcc_lo, v2, v9
	v_add_co_ci_u32_e64 v10, null, v3, v10, vcc_lo
	flat_load_dword v6, v[9:10]
	v_add_nc_u32_e32 v10, 0x100, v7
	s_waitcnt vmcnt(0) lgkmcnt(0)
	v_and_b32_e32 v13, 0x7fffffff, v6
.LBB10_2:
	s_or_b32 exec_lo, exec_lo, s5
	s_mov_b32 s5, exec_lo
	v_cmpx_lt_i32_e64 v10, v4
	s_cbranch_execz .LBB10_4
; %bb.3:
	v_add_nc_u32_e32 v11, s6, v10
	v_mov_b32_e32 v12, 0
	v_add_nc_u32_e32 v10, 0x100, v10
	v_lshlrev_b64 v[11:12], 2, v[11:12]
	v_add_co_u32 v11, vcc_lo, v2, v11
	v_add_co_ci_u32_e64 v12, null, v3, v12, vcc_lo
	flat_load_dword v6, v[11:12]
	s_waitcnt vmcnt(0) lgkmcnt(0)
	v_and_b32_e32 v12, 0x7fffffff, v6
.LBB10_4:
	s_or_b32 exec_lo, exec_lo, s5
	v_mov_b32_e32 v6, 0
	v_mov_b32_e32 v9, 0
	s_mov_b32 s5, exec_lo
	v_cmpx_lt_i32_e64 v10, v4
	s_cbranch_execz .LBB10_6
; %bb.5:
	v_add_nc_u32_e32 v14, s6, v10
	v_mov_b32_e32 v15, 0
	v_add_nc_u32_e32 v10, 0x100, v10
	v_lshlrev_b64 v[14:15], 2, v[14:15]
	v_add_co_u32 v14, vcc_lo, v2, v14
	v_add_co_ci_u32_e64 v15, null, v3, v15, vcc_lo
	flat_load_dword v9, v[14:15]
	s_waitcnt vmcnt(0) lgkmcnt(0)
	v_and_b32_e32 v9, 0x7fffffff, v9
.LBB10_6:
	s_or_b32 exec_lo, exec_lo, s5
	s_mov_b32 s5, exec_lo
	v_cmpx_lt_i32_e64 v10, v4
	s_cbranch_execz .LBB10_8
; %bb.7:
	v_add_nc_u32_e32 v10, s6, v10
	v_mov_b32_e32 v11, 0
	v_lshlrev_b64 v[10:11], 2, v[10:11]
	v_add_co_u32 v2, vcc_lo, v2, v10
	v_add_co_ci_u32_e64 v3, null, v3, v11, vcc_lo
	flat_load_dword v2, v[2:3]
	s_waitcnt vmcnt(0) lgkmcnt(0)
	v_and_b32_e32 v6, 0x7fffffff, v2
.LBB10_8:
	s_or_b32 exec_lo, exec_lo, s5
	v_mov_b32_e32 v2, 0
	v_mov_b32_e32 v11, v2
	;; [unrolled: 1-line block ×4, first 2 shown]
	s_and_saveexec_b32 s7, s4
	s_cbranch_execz .LBB10_14
; %bb.9:
	v_mul_f32_e32 v3, 0x3fb8aa3b, v13
	s_mov_b32 s5, exec_lo
                                        ; implicit-def: $vgpr2
	v_cmpx_ge_f32_e32 0x41000000, v13
	s_xor_b32 s5, exec_lo, s5
	s_cbranch_execz .LBB10_11
; %bb.10:
	v_fma_f32 v2, v13, 0.5, -2.0
	s_mov_b32 s8, 0xa2a2e5b9
	v_rndne_f32_e32 v14, v3
	v_fma_f32 v15, 0x3fb8aa3b, v13, -v3
	v_cmp_ngt_f32_e32 vcc_lo, 0xc2ce8ed0, v13
	v_fmaak_f32 v10, s8, v2, 0x24199b15
	v_sub_f32_e32 v3, v3, v14
	v_fmamk_f32 v15, v13, 0x32a5705f, v15
	v_cvt_i32_f32_e32 v14, v14
	v_fmaak_f32 v11, v2, v10, 0x22a2e5b9
	v_add_f32_e32 v3, v3, v15
	v_add_f32_e32 v11, 0xa58c275c, v11
	v_exp_f32_e32 v3, v3
	v_fma_f32 v10, v2, v11, -v10
	v_add_f32_e32 v10, 0x26f736c5, v10
	v_ldexp_f32 v3, v3, v14
	v_fma_f32 v11, v2, v10, -v11
	v_cndmask_b32_e32 v3, 0, v3, vcc_lo
	v_cmp_nlt_f32_e32 vcc_lo, 0x42b17218, v13
	v_add_f32_e32 v11, 0xa8528116, v11
                                        ; implicit-def: $vgpr13
	v_cndmask_b32_e32 v3, 0x7f800000, v3, vcc_lo
	v_fma_f32 v10, v2, v11, -v10
	v_add_f32_e32 v10, 0x29acda32, v10
	v_fma_f32 v11, v2, v10, -v11
	v_add_f32_e32 v11, 0xab08b263, v11
	;; [unrolled: 2-line block ×25, first 2 shown]
	v_sub_f32_e32 v2, v2, v10
	v_mul_f32_e32 v2, 0.5, v2
	v_mul_f32_e32 v2, v3, v2
                                        ; implicit-def: $vgpr3
.LBB10_11:
	s_andn2_saveexec_b32 s8, s5
	s_cbranch_execz .LBB10_13
; %bb.12:
	v_div_scale_f32 v2, null, v13, v13, 0x42000000
	v_div_scale_f32 v14, vcc_lo, 0x42000000, v13, 0x42000000
	s_mov_b32 s5, 0xa3056dbb
	v_rcp_f32_e32 v10, v2
	v_fma_f32 v16, 0x3fb8aa3b, v13, -v3
	v_fmamk_f32 v16, v13, 0x32a5705f, v16
	v_fma_f32 v11, -v2, v10, 1.0
	v_fmac_f32_e32 v10, v11, v10
	v_mul_f32_e32 v11, v14, v10
	v_fma_f32 v15, -v2, v11, v14
	v_fmac_f32_e32 v11, v15, v10
	v_rndne_f32_e32 v15, v3
	v_fma_f32 v2, -v2, v11, v14
	v_mul_f32_e32 v14, 0x4f800000, v13
	v_sub_f32_e32 v3, v3, v15
	v_cvt_i32_f32_e32 v15, v15
	v_div_fmas_f32 v2, v2, v10, v11
	v_cmp_gt_f32_e32 vcc_lo, 0xf800000, v13
	v_add_f32_e32 v3, v3, v16
	v_div_fixup_f32 v2, v2, v13, 0x42000000
	v_cndmask_b32_e32 v14, v13, v14, vcc_lo
	v_exp_f32_e32 v3, v3
	v_add_f32_e32 v2, -2.0, v2
	v_sqrt_f32_e32 v17, v14
	v_fmaak_f32 v10, s5, v2, 0xa2b236d3
	v_ldexp_f32 v3, v3, v15
	v_fmaak_f32 v11, v2, v10, 0x23056dbb
	v_add_nc_u32_e32 v16, -1, v17
	v_add_nc_u32_e32 v18, 1, v17
	v_add_f32_e32 v11, 0x244df0c1, v11
	v_fma_f32 v19, -v16, v17, v14
	v_fma_f32 v20, -v18, v17, v14
	v_fma_f32 v10, v2, v11, -v10
	v_cmp_ge_f32_e64 s5, 0, v19
	v_add_f32_e32 v10, 0x241f9ee8, v10
	v_cndmask_b32_e64 v16, v17, v16, s5
	v_cmp_lt_f32_e64 s5, 0, v20
	v_fma_f32 v11, v2, v10, -v11
	v_add_f32_e32 v11, 0xa5a3005d, v11
	v_fma_f32 v10, v2, v11, -v10
	v_add_f32_e32 v10, 0xa5c5773f, v10
	;; [unrolled: 2-line block ×20, first 2 shown]
	v_fma_f32 v2, v2, v10, -v11
	v_cndmask_b32_e64 v10, v16, v18, s5
	v_cmp_ngt_f32_e64 s5, 0xc2ce8ed0, v13
	v_add_f32_e32 v2, 0x3f4df315, v2
	v_mul_f32_e32 v15, 0x37800000, v10
	v_cndmask_b32_e64 v3, 0, v3, s5
	v_cmp_nlt_f32_e64 s5, 0x42b17218, v13
	v_sub_f32_e32 v2, v2, v11
	v_cndmask_b32_e32 v10, v10, v15, vcc_lo
	v_cmp_class_f32_e64 vcc_lo, v14, 0x260
	v_cndmask_b32_e64 v3, 0x7f800000, v3, s5
	v_mul_f32_e32 v2, 0.5, v2
	v_cndmask_b32_e32 v10, v10, v14, vcc_lo
	v_mul_f32_e32 v2, v3, v2
	v_div_scale_f32 v3, null, v10, v10, v2
	v_rcp_f32_e32 v11, v3
	v_fma_f32 v13, -v3, v11, 1.0
	v_fmac_f32_e32 v11, v13, v11
	v_div_scale_f32 v13, vcc_lo, v2, v10, v2
	v_mul_f32_e32 v14, v13, v11
	v_fma_f32 v15, -v3, v14, v13
	v_fmac_f32_e32 v14, v15, v11
	v_fma_f32 v3, -v3, v14, v13
	v_div_fmas_f32 v3, v3, v11, v14
	v_div_fixup_f32 v2, v3, v10, v2
.LBB10_13:
	s_or_b32 exec_lo, exec_lo, s8
	v_mov_b32_e32 v11, 0
	v_mov_b32_e32 v10, v11
	;; [unrolled: 1-line block ×3, first 2 shown]
.LBB10_14:
	s_or_b32 exec_lo, exec_lo, s7
	s_mov_b32 s7, exec_lo
	v_cmpx_lt_i32_e64 v8, v4
	s_cbranch_execz .LBB10_20
; %bb.15:
	v_mul_f32_e32 v13, 0x3fb8aa3b, v12
	s_mov_b32 s5, exec_lo
	v_cmpx_ge_f32_e32 0x41000000, v12
	s_xor_b32 s5, exec_lo, s5
                                        ; implicit-def: $vgpr11
	s_cbranch_execz .LBB10_17
; %bb.16:
	v_fma_f32 v11, v12, 0.5, -2.0
	s_mov_b32 s8, 0xa2a2e5b9
	v_rndne_f32_e32 v16, v13
	v_fma_f32 v17, 0x3fb8aa3b, v12, -v13
	v_cmp_ngt_f32_e32 vcc_lo, 0xc2ce8ed0, v12
	v_fmaak_f32 v14, s8, v11, 0x24199b15
	v_sub_f32_e32 v13, v13, v16
	v_fmamk_f32 v17, v12, 0x32a5705f, v17
	v_cvt_i32_f32_e32 v16, v16
	v_fmaak_f32 v15, v11, v14, 0x22a2e5b9
	v_add_f32_e32 v13, v13, v17
	v_add_f32_e32 v15, 0xa58c275c, v15
	v_exp_f32_e32 v13, v13
	v_fma_f32 v14, v11, v15, -v14
	v_add_f32_e32 v14, 0x26f736c5, v14
	v_ldexp_f32 v13, v13, v16
	v_fma_f32 v15, v11, v14, -v15
	v_cndmask_b32_e32 v13, 0, v13, vcc_lo
	v_cmp_nlt_f32_e32 vcc_lo, 0x42b17218, v12
	v_add_f32_e32 v15, 0xa8528116, v15
	v_cndmask_b32_e32 v12, 0x7f800000, v13, vcc_lo
	v_fma_f32 v14, v11, v15, -v14
                                        ; implicit-def: $vgpr13
	v_add_f32_e32 v14, 0x29acda32, v14
	v_fma_f32 v15, v11, v14, -v15
	v_add_f32_e32 v15, 0xab08b263, v15
	v_fma_f32 v14, v11, v15, -v14
	;; [unrolled: 2-line block ×24, first 2 shown]
	v_add_f32_e32 v11, 0x3f2d4275, v11
	v_sub_f32_e32 v11, v11, v14
	v_mul_f32_e32 v11, 0.5, v11
	v_mul_f32_e32 v11, v12, v11
                                        ; implicit-def: $vgpr12
.LBB10_17:
	s_andn2_saveexec_b32 s8, s5
	s_cbranch_execz .LBB10_19
; %bb.18:
	v_div_scale_f32 v11, null, v12, v12, 0x42000000
	v_div_scale_f32 v16, vcc_lo, 0x42000000, v12, 0x42000000
	s_mov_b32 s5, 0xa3056dbb
	v_rcp_f32_e32 v14, v11
	v_fma_f32 v18, 0x3fb8aa3b, v12, -v13
	v_fmamk_f32 v18, v12, 0x32a5705f, v18
	v_fma_f32 v15, -v11, v14, 1.0
	v_fmac_f32_e32 v14, v15, v14
	v_mul_f32_e32 v15, v16, v14
	v_fma_f32 v17, -v11, v15, v16
	v_fmac_f32_e32 v15, v17, v14
	v_rndne_f32_e32 v17, v13
	v_fma_f32 v11, -v11, v15, v16
	v_mul_f32_e32 v16, 0x4f800000, v12
	v_sub_f32_e32 v13, v13, v17
	v_cvt_i32_f32_e32 v17, v17
	v_div_fmas_f32 v11, v11, v14, v15
	v_cmp_gt_f32_e32 vcc_lo, 0xf800000, v12
	v_add_f32_e32 v13, v13, v18
	v_div_fixup_f32 v11, v11, v12, 0x42000000
	v_cndmask_b32_e32 v16, v12, v16, vcc_lo
	v_exp_f32_e32 v13, v13
	v_add_f32_e32 v11, -2.0, v11
	v_sqrt_f32_e32 v19, v16
	v_fmaak_f32 v14, s5, v11, 0xa2b236d3
	v_ldexp_f32 v13, v13, v17
	v_fmaak_f32 v15, v11, v14, 0x23056dbb
	v_add_nc_u32_e32 v18, -1, v19
	v_add_nc_u32_e32 v20, 1, v19
	v_add_f32_e32 v15, 0x244df0c1, v15
	v_fma_f32 v21, -v18, v19, v16
	v_fma_f32 v22, -v20, v19, v16
	v_fma_f32 v14, v11, v15, -v14
	v_cmp_ge_f32_e64 s5, 0, v21
	v_add_f32_e32 v14, 0x241f9ee8, v14
	v_cndmask_b32_e64 v18, v19, v18, s5
	v_cmp_lt_f32_e64 s5, 0, v22
	v_fma_f32 v15, v11, v14, -v15
	v_add_f32_e32 v15, 0xa5a3005d, v15
	v_fma_f32 v14, v11, v15, -v14
	v_add_f32_e32 v14, 0xa5c5773f, v14
	;; [unrolled: 2-line block ×20, first 2 shown]
	v_fma_f32 v11, v11, v14, -v15
	v_cndmask_b32_e64 v14, v18, v20, s5
	v_cmp_ngt_f32_e64 s5, 0xc2ce8ed0, v12
	v_add_f32_e32 v11, 0x3f4df315, v11
	v_mul_f32_e32 v17, 0x37800000, v14
	v_cndmask_b32_e64 v13, 0, v13, s5
	v_cmp_nlt_f32_e64 s5, 0x42b17218, v12
	v_sub_f32_e32 v11, v11, v15
	v_cndmask_b32_e64 v12, 0x7f800000, v13, s5
	v_cndmask_b32_e32 v13, v14, v17, vcc_lo
	v_mul_f32_e32 v11, 0.5, v11
	v_cmp_class_f32_e64 vcc_lo, v16, 0x260
	v_mul_f32_e32 v11, v12, v11
	v_cndmask_b32_e32 v13, v13, v16, vcc_lo
	v_div_scale_f32 v12, null, v13, v13, v11
	v_rcp_f32_e32 v14, v12
	v_fma_f32 v15, -v12, v14, 1.0
	v_fmac_f32_e32 v14, v15, v14
	v_div_scale_f32 v15, vcc_lo, v11, v13, v11
	v_mul_f32_e32 v16, v15, v14
	v_fma_f32 v17, -v12, v16, v15
	v_fmac_f32_e32 v16, v17, v14
	v_fma_f32 v12, -v12, v16, v15
	v_div_fmas_f32 v12, v12, v14, v16
	v_div_fixup_f32 v11, v12, v13, v11
.LBB10_19:
	s_or_b32 exec_lo, exec_lo, s8
.LBB10_20:
	s_or_b32 exec_lo, exec_lo, s7
	v_add_nc_u32_e32 v12, 0x200, v7
	s_mov_b32 s7, exec_lo
	v_cmpx_lt_i32_e64 v12, v4
	s_cbranch_execz .LBB10_26
; %bb.21:
	v_mul_f32_e32 v12, 0x3fb8aa3b, v9
	s_mov_b32 s5, exec_lo
	v_cmpx_ge_f32_e32 0x41000000, v9
	s_xor_b32 s5, exec_lo, s5
                                        ; implicit-def: $vgpr10
	s_cbranch_execz .LBB10_23
; %bb.22:
	v_fma_f32 v10, v9, 0.5, -2.0
	s_mov_b32 s8, 0xa2a2e5b9
	v_rndne_f32_e32 v15, v12
	v_fma_f32 v16, 0x3fb8aa3b, v9, -v12
	v_cmp_ngt_f32_e32 vcc_lo, 0xc2ce8ed0, v9
	v_fmaak_f32 v13, s8, v10, 0x24199b15
	v_sub_f32_e32 v12, v12, v15
	v_fmamk_f32 v16, v9, 0x32a5705f, v16
	v_cvt_i32_f32_e32 v15, v15
	v_fmaak_f32 v14, v10, v13, 0x22a2e5b9
	v_add_f32_e32 v12, v12, v16
	v_add_f32_e32 v14, 0xa58c275c, v14
	v_exp_f32_e32 v12, v12
	v_fma_f32 v13, v10, v14, -v13
	v_add_f32_e32 v13, 0x26f736c5, v13
	v_ldexp_f32 v12, v12, v15
	v_fma_f32 v14, v10, v13, -v14
	v_cndmask_b32_e32 v12, 0, v12, vcc_lo
	v_cmp_nlt_f32_e32 vcc_lo, 0x42b17218, v9
	v_add_f32_e32 v14, 0xa8528116, v14
	v_cndmask_b32_e32 v9, 0x7f800000, v12, vcc_lo
	v_fma_f32 v13, v10, v14, -v13
                                        ; implicit-def: $vgpr12
	v_add_f32_e32 v13, 0x29acda32, v13
	v_fma_f32 v14, v10, v13, -v14
	v_add_f32_e32 v14, 0xab08b263, v14
	v_fma_f32 v13, v10, v14, -v13
	v_add_f32_e32 v13, 0x2c4ff17f, v13
	v_fma_f32 v14, v10, v13, -v14
	v_add_f32_e32 v14, 0xad97e4ac, v14
	v_fma_f32 v13, v10, v14, -v13
	v_add_f32_e32 v13, 0x2ed4c5f6, v13
	v_fma_f32 v14, v10, v13, -v14
	v_add_f32_e32 v14, 0xb00ea7f1, v14
	v_fma_f32 v13, v10, v14, -v13
	v_add_f32_e32 v13, 0x3136c81d, v13
	v_fma_f32 v14, v10, v13, -v14
	v_add_f32_e32 v14, 0xb25f57b4, v14
	v_fma_f32 v13, v10, v14, -v13
	v_add_f32_e32 v13, 0x3381dbb5, v13
	v_fma_f32 v14, v10, v13, -v14
	v_add_f32_e32 v14, 0xb48f631c, v14
	v_fma_f32 v13, v10, v14, -v13
	v_add_f32_e32 v13, 0x3595f925, v13
	v_fma_f32 v14, v10, v13, -v14
	v_add_f32_e32 v14, 0xb694337e, v14
	v_fma_f32 v13, v10, v14, -v13
	v_add_f32_e32 v13, 0x3789fac6, v13
	v_fma_f32 v14, v10, v13, -v14
	v_add_f32_e32 v14, 0xb8715933, v14
	v_fma_f32 v13, v10, v14, -v13
	v_add_f32_e32 v13, 0x3945a8dc, v13
	v_fma_f32 v14, v10, v13, -v14
	v_add_f32_e32 v14, 0xba1717e9, v14
	v_fma_f32 v13, v10, v14, -v13
	v_add_f32_e32 v13, 0x3ad6e3ac, v13
	v_fma_f32 v14, v10, v13, -v14
	v_add_f32_e32 v14, 0xbb8db2f1, v14
	v_fma_f32 v13, v10, v14, -v13
	v_add_f32_e32 v13, 0x3c2ccb10, v13
	v_fma_f32 v14, v10, v13, -v14
	v_add_f32_e32 v14, 0xbcc274f8, v14
	v_fma_f32 v13, v10, v14, -v13
	v_add_f32_e32 v13, 0x3d49f456, v13
	v_fma_f32 v14, v10, v13, -v14
	v_add_f32_e32 v14, 0xbdc25b82, v14
	v_fma_f32 v13, v10, v14, -v13
	v_add_f32_e32 v13, 0x3e2fbd64, v13
	v_fma_f32 v14, v10, v13, -v14
	v_add_f32_e32 v14, 0xbe9bff5e, v14
	v_fma_f32 v10, v10, v14, -v13
	v_add_f32_e32 v10, 0x3f2d4275, v10
	v_sub_f32_e32 v10, v10, v13
	v_mul_f32_e32 v10, 0.5, v10
	v_mul_f32_e32 v10, v9, v10
                                        ; implicit-def: $vgpr9
.LBB10_23:
	s_andn2_saveexec_b32 s8, s5
	s_cbranch_execz .LBB10_25
; %bb.24:
	v_div_scale_f32 v10, null, v9, v9, 0x42000000
	v_div_scale_f32 v15, vcc_lo, 0x42000000, v9, 0x42000000
	s_mov_b32 s5, 0xa3056dbb
	v_rcp_f32_e32 v13, v10
	v_fma_f32 v17, 0x3fb8aa3b, v9, -v12
	v_fmamk_f32 v17, v9, 0x32a5705f, v17
	v_fma_f32 v14, -v10, v13, 1.0
	v_fmac_f32_e32 v13, v14, v13
	v_mul_f32_e32 v14, v15, v13
	v_fma_f32 v16, -v10, v14, v15
	v_fmac_f32_e32 v14, v16, v13
	v_rndne_f32_e32 v16, v12
	v_fma_f32 v10, -v10, v14, v15
	v_mul_f32_e32 v15, 0x4f800000, v9
	v_sub_f32_e32 v12, v12, v16
	v_cvt_i32_f32_e32 v16, v16
	v_div_fmas_f32 v10, v10, v13, v14
	v_cmp_gt_f32_e32 vcc_lo, 0xf800000, v9
	v_add_f32_e32 v12, v12, v17
	v_div_fixup_f32 v10, v10, v9, 0x42000000
	v_cndmask_b32_e32 v15, v9, v15, vcc_lo
	v_exp_f32_e32 v12, v12
	v_add_f32_e32 v10, -2.0, v10
	v_sqrt_f32_e32 v18, v15
	v_fmaak_f32 v13, s5, v10, 0xa2b236d3
	v_ldexp_f32 v12, v12, v16
	v_fmaak_f32 v14, v10, v13, 0x23056dbb
	v_add_nc_u32_e32 v17, -1, v18
	v_add_nc_u32_e32 v19, 1, v18
	v_add_f32_e32 v14, 0x244df0c1, v14
	v_fma_f32 v20, -v17, v18, v15
	v_fma_f32 v21, -v19, v18, v15
	v_fma_f32 v13, v10, v14, -v13
	v_cmp_ge_f32_e64 s5, 0, v20
	v_add_f32_e32 v13, 0x241f9ee8, v13
	v_cndmask_b32_e64 v17, v18, v17, s5
	v_cmp_lt_f32_e64 s5, 0, v21
	v_fma_f32 v14, v10, v13, -v14
	v_add_f32_e32 v14, 0xa5a3005d, v14
	v_fma_f32 v13, v10, v14, -v13
	v_add_f32_e32 v13, 0xa5c5773f, v13
	;; [unrolled: 2-line block ×20, first 2 shown]
	v_fma_f32 v10, v10, v13, -v14
	v_cndmask_b32_e64 v13, v17, v19, s5
	v_cmp_ngt_f32_e64 s5, 0xc2ce8ed0, v9
	v_add_f32_e32 v10, 0x3f4df315, v10
	v_mul_f32_e32 v16, 0x37800000, v13
	v_cndmask_b32_e64 v12, 0, v12, s5
	v_cmp_nlt_f32_e64 s5, 0x42b17218, v9
	v_sub_f32_e32 v10, v10, v14
	v_cndmask_b32_e64 v9, 0x7f800000, v12, s5
	v_cndmask_b32_e32 v12, v13, v16, vcc_lo
	v_mul_f32_e32 v10, 0.5, v10
	v_cmp_class_f32_e64 vcc_lo, v15, 0x260
	v_mul_f32_e32 v9, v9, v10
	v_cndmask_b32_e32 v12, v12, v15, vcc_lo
	v_div_scale_f32 v10, null, v12, v12, v9
	v_rcp_f32_e32 v13, v10
	v_fma_f32 v14, -v10, v13, 1.0
	v_fmac_f32_e32 v13, v14, v13
	v_div_scale_f32 v14, vcc_lo, v9, v12, v9
	v_mul_f32_e32 v15, v14, v13
	v_fma_f32 v16, -v10, v15, v14
	v_fmac_f32_e32 v15, v16, v13
	v_fma_f32 v10, -v10, v15, v14
	v_div_fmas_f32 v10, v10, v13, v15
	v_div_fixup_f32 v10, v10, v12, v9
.LBB10_25:
	s_or_b32 exec_lo, exec_lo, s8
.LBB10_26:
	s_or_b32 exec_lo, exec_lo, s7
	v_add_nc_u32_e32 v9, 0x300, v7
	s_mov_b32 s7, exec_lo
	v_cmpx_lt_i32_e64 v9, v4
	s_cbranch_execnz .LBB10_32
; %bb.27:
	s_or_b32 exec_lo, exec_lo, s7
	s_and_saveexec_b32 s5, s4
	s_xor_b32 s4, exec_lo, s5
	s_cbranch_execnz .LBB10_37
.LBB10_28:
	s_or_b32 exec_lo, exec_lo, s4
	s_mov_b32 s4, exec_lo
	v_cmpx_lt_i32_e64 v7, v4
	s_cbranch_execnz .LBB10_38
.LBB10_29:
	s_or_b32 exec_lo, exec_lo, s4
	s_mov_b32 s4, exec_lo
	v_cmpx_lt_i32_e64 v7, v4
	s_cbranch_execnz .LBB10_39
.LBB10_30:
	s_or_b32 exec_lo, exec_lo, s4
	s_mov_b32 s4, exec_lo
	v_cmpx_lt_i32_e64 v7, v4
	s_cbranch_execnz .LBB10_40
.LBB10_31:
	s_or_b32 exec_lo, exec_lo, s4
	s_waitcnt lgkmcnt(0)
	s_setpc_b64 s[30:31]
.LBB10_32:
	v_mul_f32_e32 v9, 0x3fb8aa3b, v6
	s_mov_b32 s5, exec_lo
	v_cmpx_ge_f32_e32 0x41000000, v6
	s_xor_b32 s5, exec_lo, s5
                                        ; implicit-def: $vgpr3
	s_cbranch_execz .LBB10_34
; %bb.33:
	v_fma_f32 v3, v6, 0.5, -2.0
	s_mov_b32 s8, 0xa2a2e5b9
	v_rndne_f32_e32 v14, v9
	v_fma_f32 v15, 0x3fb8aa3b, v6, -v9
	v_cmp_ngt_f32_e32 vcc_lo, 0xc2ce8ed0, v6
	v_fmaak_f32 v12, s8, v3, 0x24199b15
	v_sub_f32_e32 v9, v9, v14
	v_fmamk_f32 v15, v6, 0x32a5705f, v15
	v_cvt_i32_f32_e32 v14, v14
	v_fmaak_f32 v13, v3, v12, 0x22a2e5b9
	v_add_f32_e32 v9, v9, v15
	v_add_f32_e32 v13, 0xa58c275c, v13
	v_exp_f32_e32 v9, v9
	v_fma_f32 v12, v3, v13, -v12
	v_add_f32_e32 v12, 0x26f736c5, v12
	v_ldexp_f32 v9, v9, v14
	v_fma_f32 v13, v3, v12, -v13
	v_cndmask_b32_e32 v9, 0, v9, vcc_lo
	v_cmp_nlt_f32_e32 vcc_lo, 0x42b17218, v6
	v_add_f32_e32 v13, 0xa8528116, v13
	v_cndmask_b32_e32 v6, 0x7f800000, v9, vcc_lo
	v_fma_f32 v12, v3, v13, -v12
                                        ; implicit-def: $vgpr9
	v_add_f32_e32 v12, 0x29acda32, v12
	v_fma_f32 v13, v3, v12, -v13
	v_add_f32_e32 v13, 0xab08b263, v13
	v_fma_f32 v12, v3, v13, -v12
	;; [unrolled: 2-line block ×24, first 2 shown]
	v_add_f32_e32 v3, 0x3f2d4275, v3
	v_sub_f32_e32 v3, v3, v12
	v_mul_f32_e32 v3, 0.5, v3
	v_mul_f32_e32 v3, v6, v3
                                        ; implicit-def: $vgpr6
.LBB10_34:
	s_andn2_saveexec_b32 s8, s5
	s_cbranch_execz .LBB10_36
; %bb.35:
	v_div_scale_f32 v3, null, v6, v6, 0x42000000
	v_div_scale_f32 v14, vcc_lo, 0x42000000, v6, 0x42000000
	s_mov_b32 s5, 0xa3056dbb
	v_rcp_f32_e32 v12, v3
	v_fma_f32 v16, 0x3fb8aa3b, v6, -v9
	v_fmamk_f32 v16, v6, 0x32a5705f, v16
	v_fma_f32 v13, -v3, v12, 1.0
	v_fmac_f32_e32 v12, v13, v12
	v_mul_f32_e32 v13, v14, v12
	v_fma_f32 v15, -v3, v13, v14
	v_fmac_f32_e32 v13, v15, v12
	v_rndne_f32_e32 v15, v9
	v_fma_f32 v3, -v3, v13, v14
	v_mul_f32_e32 v14, 0x4f800000, v6
	v_sub_f32_e32 v9, v9, v15
	v_cvt_i32_f32_e32 v15, v15
	v_div_fmas_f32 v3, v3, v12, v13
	v_cmp_gt_f32_e32 vcc_lo, 0xf800000, v6
	v_add_f32_e32 v9, v9, v16
	v_div_fixup_f32 v3, v3, v6, 0x42000000
	v_cndmask_b32_e32 v14, v6, v14, vcc_lo
	v_exp_f32_e32 v9, v9
	v_add_f32_e32 v3, -2.0, v3
	v_sqrt_f32_e32 v17, v14
	v_fmaak_f32 v12, s5, v3, 0xa2b236d3
	v_ldexp_f32 v9, v9, v15
	v_fmaak_f32 v13, v3, v12, 0x23056dbb
	v_add_nc_u32_e32 v16, -1, v17
	v_add_nc_u32_e32 v18, 1, v17
	v_add_f32_e32 v13, 0x244df0c1, v13
	v_fma_f32 v19, -v16, v17, v14
	v_fma_f32 v20, -v18, v17, v14
	v_fma_f32 v12, v3, v13, -v12
	v_cmp_ge_f32_e64 s5, 0, v19
	v_add_f32_e32 v12, 0x241f9ee8, v12
	v_cndmask_b32_e64 v16, v17, v16, s5
	v_cmp_lt_f32_e64 s5, 0, v20
	v_fma_f32 v13, v3, v12, -v13
	v_add_f32_e32 v13, 0xa5a3005d, v13
	v_fma_f32 v12, v3, v13, -v12
	v_add_f32_e32 v12, 0xa5c5773f, v12
	;; [unrolled: 2-line block ×20, first 2 shown]
	v_fma_f32 v3, v3, v12, -v13
	v_cndmask_b32_e64 v12, v16, v18, s5
	v_cmp_ngt_f32_e64 s5, 0xc2ce8ed0, v6
	v_add_f32_e32 v3, 0x3f4df315, v3
	v_mul_f32_e32 v15, 0x37800000, v12
	v_cndmask_b32_e64 v9, 0, v9, s5
	v_cmp_nlt_f32_e64 s5, 0x42b17218, v6
	v_sub_f32_e32 v3, v3, v13
	v_cndmask_b32_e64 v6, 0x7f800000, v9, s5
	v_cndmask_b32_e32 v9, v12, v15, vcc_lo
	v_mul_f32_e32 v3, 0.5, v3
	v_cmp_class_f32_e64 vcc_lo, v14, 0x260
	v_mul_f32_e32 v3, v6, v3
	v_cndmask_b32_e32 v9, v9, v14, vcc_lo
	v_div_scale_f32 v6, null, v9, v9, v3
	v_rcp_f32_e32 v12, v6
	v_fma_f32 v13, -v6, v12, 1.0
	v_fmac_f32_e32 v12, v13, v12
	v_div_scale_f32 v13, vcc_lo, v3, v9, v3
	v_mul_f32_e32 v14, v13, v12
	v_fma_f32 v15, -v6, v14, v13
	v_fmac_f32_e32 v14, v15, v12
	v_fma_f32 v6, -v6, v14, v13
	v_div_fmas_f32 v6, v6, v12, v14
	v_div_fixup_f32 v3, v6, v9, v3
.LBB10_36:
	s_or_b32 exec_lo, exec_lo, s8
	s_or_b32 exec_lo, exec_lo, s7
	s_and_saveexec_b32 s5, s4
	s_xor_b32 s4, exec_lo, s5
	s_cbranch_execz .LBB10_28
.LBB10_37:
	v_mov_b32_e32 v6, 0
	v_mov_b32_e32 v7, v8
	v_lshlrev_b64 v[5:6], 2, v[5:6]
	v_add_co_u32 v5, vcc_lo, v0, v5
	v_add_co_ci_u32_e64 v6, null, v1, v6, vcc_lo
	flat_store_dword v[5:6], v2
	s_or_b32 exec_lo, exec_lo, s4
	s_mov_b32 s4, exec_lo
	v_cmpx_lt_i32_e64 v7, v4
	s_cbranch_execz .LBB10_29
.LBB10_38:
	v_add_nc_u32_e32 v5, s6, v7
	v_mov_b32_e32 v6, 0
	v_add_nc_u32_e32 v7, 0x100, v7
	v_lshlrev_b64 v[5:6], 2, v[5:6]
	v_add_co_u32 v5, vcc_lo, v0, v5
	v_add_co_ci_u32_e64 v6, null, v1, v6, vcc_lo
	flat_store_dword v[5:6], v11
	s_or_b32 exec_lo, exec_lo, s4
	s_mov_b32 s4, exec_lo
	v_cmpx_lt_i32_e64 v7, v4
	s_cbranch_execz .LBB10_30
.LBB10_39:
	v_add_nc_u32_e32 v5, s6, v7
	v_mov_b32_e32 v6, 0
	v_add_nc_u32_e32 v7, 0x100, v7
	v_lshlrev_b64 v[5:6], 2, v[5:6]
	v_add_co_u32 v5, vcc_lo, v0, v5
	v_add_co_ci_u32_e64 v6, null, v1, v6, vcc_lo
	flat_store_dword v[5:6], v10
	s_or_b32 exec_lo, exec_lo, s4
	s_mov_b32 s4, exec_lo
	v_cmpx_lt_i32_e64 v7, v4
	s_cbranch_execz .LBB10_31
.LBB10_40:
	v_add_nc_u32_e32 v4, s6, v7
	v_mov_b32_e32 v5, 0
	v_lshlrev_b64 v[4:5], 2, v[4:5]
	v_add_co_u32 v0, vcc_lo, v0, v4
	v_add_co_ci_u32_e64 v1, null, v1, v5, vcc_lo
	flat_store_dword v[0:1], v3
	s_or_b32 exec_lo, exec_lo, s4
	s_waitcnt lgkmcnt(0)
	s_setpc_b64 s[30:31]
.Lfunc_end10:
	.size	_ZN2at6native25elementwise_kernel_helperILb0EZZZNS0_12_GLOBAL__N_130modified_bessel_i0_kernel_cudaERNS_18TensorIteratorBaseEENKUlvE_clEvENKUlvE0_clEvEUlfE_NS0_6memory8policies11unroll_baseILi256ESt5arrayIPcLm2EE23TrivialOffsetCalculatorILi1EjESF_NS8_15LoadWithoutCastENS8_16StoreWithoutCastELi4ELi1EEEEEvT0_T1_, .Lfunc_end10-_ZN2at6native25elementwise_kernel_helperILb0EZZZNS0_12_GLOBAL__N_130modified_bessel_i0_kernel_cudaERNS_18TensorIteratorBaseEENKUlvE_clEvENKUlvE0_clEvEUlfE_NS0_6memory8policies11unroll_baseILi256ESt5arrayIPcLm2EE23TrivialOffsetCalculatorILi1EjESF_NS8_15LoadWithoutCastENS8_16StoreWithoutCastELi4ELi1EEEEEvT0_T1_
                                        ; -- End function
	.set .L_ZN2at6native25elementwise_kernel_helperILb0EZZZNS0_12_GLOBAL__N_130modified_bessel_i0_kernel_cudaERNS_18TensorIteratorBaseEENKUlvE_clEvENKUlvE0_clEvEUlfE_NS0_6memory8policies11unroll_baseILi256ESt5arrayIPcLm2EE23TrivialOffsetCalculatorILi1EjESF_NS8_15LoadWithoutCastENS8_16StoreWithoutCastELi4ELi1EEEEEvT0_T1_.num_vgpr, 32
	.set .L_ZN2at6native25elementwise_kernel_helperILb0EZZZNS0_12_GLOBAL__N_130modified_bessel_i0_kernel_cudaERNS_18TensorIteratorBaseEENKUlvE_clEvENKUlvE0_clEvEUlfE_NS0_6memory8policies11unroll_baseILi256ESt5arrayIPcLm2EE23TrivialOffsetCalculatorILi1EjESF_NS8_15LoadWithoutCastENS8_16StoreWithoutCastELi4ELi1EEEEEvT0_T1_.num_agpr, 0
	.set .L_ZN2at6native25elementwise_kernel_helperILb0EZZZNS0_12_GLOBAL__N_130modified_bessel_i0_kernel_cudaERNS_18TensorIteratorBaseEENKUlvE_clEvENKUlvE0_clEvEUlfE_NS0_6memory8policies11unroll_baseILi256ESt5arrayIPcLm2EE23TrivialOffsetCalculatorILi1EjESF_NS8_15LoadWithoutCastENS8_16StoreWithoutCastELi4ELi1EEEEEvT0_T1_.numbered_sgpr, 32
	.set .L_ZN2at6native25elementwise_kernel_helperILb0EZZZNS0_12_GLOBAL__N_130modified_bessel_i0_kernel_cudaERNS_18TensorIteratorBaseEENKUlvE_clEvENKUlvE0_clEvEUlfE_NS0_6memory8policies11unroll_baseILi256ESt5arrayIPcLm2EE23TrivialOffsetCalculatorILi1EjESF_NS8_15LoadWithoutCastENS8_16StoreWithoutCastELi4ELi1EEEEEvT0_T1_.num_named_barrier, 0
	.set .L_ZN2at6native25elementwise_kernel_helperILb0EZZZNS0_12_GLOBAL__N_130modified_bessel_i0_kernel_cudaERNS_18TensorIteratorBaseEENKUlvE_clEvENKUlvE0_clEvEUlfE_NS0_6memory8policies11unroll_baseILi256ESt5arrayIPcLm2EE23TrivialOffsetCalculatorILi1EjESF_NS8_15LoadWithoutCastENS8_16StoreWithoutCastELi4ELi1EEEEEvT0_T1_.private_seg_size, 0
	.set .L_ZN2at6native25elementwise_kernel_helperILb0EZZZNS0_12_GLOBAL__N_130modified_bessel_i0_kernel_cudaERNS_18TensorIteratorBaseEENKUlvE_clEvENKUlvE0_clEvEUlfE_NS0_6memory8policies11unroll_baseILi256ESt5arrayIPcLm2EE23TrivialOffsetCalculatorILi1EjESF_NS8_15LoadWithoutCastENS8_16StoreWithoutCastELi4ELi1EEEEEvT0_T1_.uses_vcc, 1
	.set .L_ZN2at6native25elementwise_kernel_helperILb0EZZZNS0_12_GLOBAL__N_130modified_bessel_i0_kernel_cudaERNS_18TensorIteratorBaseEENKUlvE_clEvENKUlvE0_clEvEUlfE_NS0_6memory8policies11unroll_baseILi256ESt5arrayIPcLm2EE23TrivialOffsetCalculatorILi1EjESF_NS8_15LoadWithoutCastENS8_16StoreWithoutCastELi4ELi1EEEEEvT0_T1_.uses_flat_scratch, 0
	.set .L_ZN2at6native25elementwise_kernel_helperILb0EZZZNS0_12_GLOBAL__N_130modified_bessel_i0_kernel_cudaERNS_18TensorIteratorBaseEENKUlvE_clEvENKUlvE0_clEvEUlfE_NS0_6memory8policies11unroll_baseILi256ESt5arrayIPcLm2EE23TrivialOffsetCalculatorILi1EjESF_NS8_15LoadWithoutCastENS8_16StoreWithoutCastELi4ELi1EEEEEvT0_T1_.has_dyn_sized_stack, 0
	.set .L_ZN2at6native25elementwise_kernel_helperILb0EZZZNS0_12_GLOBAL__N_130modified_bessel_i0_kernel_cudaERNS_18TensorIteratorBaseEENKUlvE_clEvENKUlvE0_clEvEUlfE_NS0_6memory8policies11unroll_baseILi256ESt5arrayIPcLm2EE23TrivialOffsetCalculatorILi1EjESF_NS8_15LoadWithoutCastENS8_16StoreWithoutCastELi4ELi1EEEEEvT0_T1_.has_recursion, 0
	.set .L_ZN2at6native25elementwise_kernel_helperILb0EZZZNS0_12_GLOBAL__N_130modified_bessel_i0_kernel_cudaERNS_18TensorIteratorBaseEENKUlvE_clEvENKUlvE0_clEvEUlfE_NS0_6memory8policies11unroll_baseILi256ESt5arrayIPcLm2EE23TrivialOffsetCalculatorILi1EjESF_NS8_15LoadWithoutCastENS8_16StoreWithoutCastELi4ELi1EEEEEvT0_T1_.has_indirect_call, 0
	.section	.AMDGPU.csdata,"",@progbits
; Function info:
; codeLenInByte = 6244
; TotalNumSgprs: 34
; NumVgprs: 32
; ScratchSize: 0
; MemoryBound: 0
	.section	.text._ZN2at6native29vectorized_elementwise_kernelILi16EZZZNS0_12_GLOBAL__N_130modified_bessel_i0_kernel_cudaERNS_18TensorIteratorBaseEENKUlvE_clEvENKUlvE0_clEvEUlfE_St5arrayIPcLm2EEEEviT0_T1_,"axG",@progbits,_ZN2at6native29vectorized_elementwise_kernelILi16EZZZNS0_12_GLOBAL__N_130modified_bessel_i0_kernel_cudaERNS_18TensorIteratorBaseEENKUlvE_clEvENKUlvE0_clEvEUlfE_St5arrayIPcLm2EEEEviT0_T1_,comdat
	.globl	_ZN2at6native29vectorized_elementwise_kernelILi16EZZZNS0_12_GLOBAL__N_130modified_bessel_i0_kernel_cudaERNS_18TensorIteratorBaseEENKUlvE_clEvENKUlvE0_clEvEUlfE_St5arrayIPcLm2EEEEviT0_T1_ ; -- Begin function _ZN2at6native29vectorized_elementwise_kernelILi16EZZZNS0_12_GLOBAL__N_130modified_bessel_i0_kernel_cudaERNS_18TensorIteratorBaseEENKUlvE_clEvENKUlvE0_clEvEUlfE_St5arrayIPcLm2EEEEviT0_T1_
	.p2align	8
	.type	_ZN2at6native29vectorized_elementwise_kernelILi16EZZZNS0_12_GLOBAL__N_130modified_bessel_i0_kernel_cudaERNS_18TensorIteratorBaseEENKUlvE_clEvENKUlvE0_clEvEUlfE_St5arrayIPcLm2EEEEviT0_T1_,@function
_ZN2at6native29vectorized_elementwise_kernelILi16EZZZNS0_12_GLOBAL__N_130modified_bessel_i0_kernel_cudaERNS_18TensorIteratorBaseEENKUlvE_clEvENKUlvE0_clEvEUlfE_St5arrayIPcLm2EEEEviT0_T1_: ; @_ZN2at6native29vectorized_elementwise_kernelILi16EZZZNS0_12_GLOBAL__N_130modified_bessel_i0_kernel_cudaERNS_18TensorIteratorBaseEENKUlvE_clEvENKUlvE0_clEvEUlfE_St5arrayIPcLm2EEEEviT0_T1_
; %bb.0:
	s_add_u32 s0, s0, s7
	s_clause 0x1
	s_load_dword s7, s[4:5], 0x0
	s_load_dwordx4 s[8:11], s[4:5], 0x8
	s_addc_u32 s1, s1, 0
	s_lshl_b32 s4, s6, 10
	s_mov_b32 s5, -1
	s_mov_b32 s32, 0
	s_waitcnt lgkmcnt(0)
	s_sub_i32 s7, s7, s4
	s_cmpk_gt_i32 s7, 0x3ff
	s_cbranch_scc1 .LBB11_3
; %bb.1:
	s_and_b32 vcc_lo, exec_lo, s5
	s_cbranch_vccnz .LBB11_20
.LBB11_2:
	s_endpgm
.LBB11_3:
	s_ashr_i32 s5, s4, 31
	v_lshlrev_b32_e32 v9, 4, v0
	s_lshl_b64 s[12:13], s[4:5], 2
                                        ; implicit-def: $vgpr5
	s_add_u32 s4, s10, s12
	s_addc_u32 s5, s11, s13
	global_load_dwordx4 v[1:4], v9, s[4:5]
	s_waitcnt vmcnt(0)
	v_cmp_ge_f32_e64 s4, 0x41000000, |v1|
	v_mul_f32_e64 v6, 0x3fb8aa3b, |v1|
	s_and_saveexec_b32 s5, s4
	s_xor_b32 s4, exec_lo, s5
	s_cbranch_execz .LBB11_5
; %bb.4:
	v_fma_f32 v5, |v1|, 0.5, -2.0
	s_mov_b32 s5, 0xa2a2e5b9
	v_rndne_f32_e32 v10, v6
	v_fma_f32 v11, 0x3fb8aa3b, |v1|, -v6
	v_cmp_ngt_f32_e64 vcc_lo, 0xc2ce8ed0, |v1|
	v_fmaak_f32 v7, s5, v5, 0x24199b15
	v_sub_f32_e32 v6, v6, v10
	v_fma_f32 v11, 0x32a5705f, |v1|, v11
	v_cvt_i32_f32_e32 v10, v10
	v_fmaak_f32 v8, v5, v7, 0x22a2e5b9
	v_add_f32_e32 v6, v6, v11
	v_add_f32_e32 v8, 0xa58c275c, v8
	v_exp_f32_e32 v6, v6
	v_fma_f32 v7, v5, v8, -v7
	v_add_f32_e32 v7, 0x26f736c5, v7
	v_ldexp_f32 v6, v6, v10
	v_fma_f32 v8, v5, v7, -v8
	v_cndmask_b32_e32 v6, 0, v6, vcc_lo
	v_cmp_nlt_f32_e64 vcc_lo, 0x42b17218, |v1|
	v_add_f32_e32 v8, 0xa8528116, v8
	v_cndmask_b32_e32 v6, 0x7f800000, v6, vcc_lo
	v_fma_f32 v7, v5, v8, -v7
	v_add_f32_e32 v7, 0x29acda32, v7
	v_fma_f32 v8, v5, v7, -v8
	v_add_f32_e32 v8, 0xab08b263, v8
	;; [unrolled: 2-line block ×25, first 2 shown]
	v_sub_f32_e32 v5, v5, v7
	v_mul_f32_e32 v5, 0.5, v5
	v_mul_f32_e32 v5, v6, v5
                                        ; implicit-def: $vgpr6
.LBB11_5:
	s_andn2_saveexec_b32 s5, s4
	s_cbranch_execz .LBB11_7
; %bb.6:
	v_and_b32_e32 v5, 0x7fffffff, v1
	s_mov_b32 s4, 0xa3056dbb
	v_fma_f32 v12, 0x3fb8aa3b, |v1|, -v6
	v_div_scale_f32 v7, null, v5, v5, 0x42000000
	v_div_scale_f32 v5, vcc_lo, 0x42000000, v5, 0x42000000
	v_fma_f32 v12, 0x32a5705f, |v1|, v12
	v_rcp_f32_e32 v8, v7
	v_fma_f32 v10, -v7, v8, 1.0
	v_fmac_f32_e32 v8, v10, v8
	v_mul_f32_e32 v10, v5, v8
	v_fma_f32 v11, -v7, v10, v5
	v_fmac_f32_e32 v10, v11, v8
	v_rndne_f32_e32 v11, v6
	v_fma_f32 v5, -v7, v10, v5
	v_sub_f32_e32 v6, v6, v11
	v_cvt_i32_f32_e32 v11, v11
	v_div_fmas_f32 v5, v5, v8, v10
	v_mul_f32_e64 v10, 0x4f800000, |v1|
	v_cmp_gt_f32_e64 vcc_lo, 0xf800000, |v1|
	v_add_f32_e32 v6, v6, v12
	v_div_fixup_f32 v5, v5, |v1|, 0x42000000
	v_cndmask_b32_e64 v10, |v1|, v10, vcc_lo
	v_exp_f32_e32 v6, v6
	v_add_f32_e32 v5, -2.0, v5
	v_sqrt_f32_e32 v13, v10
	v_fmaak_f32 v7, s4, v5, 0xa2b236d3
	v_ldexp_f32 v6, v6, v11
	v_fmaak_f32 v8, v5, v7, 0x23056dbb
	v_add_nc_u32_e32 v12, -1, v13
	v_add_nc_u32_e32 v14, 1, v13
	v_add_f32_e32 v8, 0x244df0c1, v8
	v_fma_f32 v15, -v12, v13, v10
	v_fma_f32 v16, -v14, v13, v10
	v_fma_f32 v7, v5, v8, -v7
	v_cmp_ge_f32_e64 s4, 0, v15
	v_add_f32_e32 v7, 0x241f9ee8, v7
	v_cndmask_b32_e64 v12, v13, v12, s4
	v_cmp_lt_f32_e64 s4, 0, v16
	v_fma_f32 v8, v5, v7, -v8
	v_add_f32_e32 v8, 0xa5a3005d, v8
	v_fma_f32 v7, v5, v8, -v7
	v_add_f32_e32 v7, 0xa5c5773f, v7
	;; [unrolled: 2-line block ×20, first 2 shown]
	v_fma_f32 v5, v5, v7, -v8
	v_cndmask_b32_e64 v7, v12, v14, s4
	v_cmp_ngt_f32_e64 s4, 0xc2ce8ed0, |v1|
	v_add_f32_e32 v5, 0x3f4df315, v5
	v_mul_f32_e32 v11, 0x37800000, v7
	v_cndmask_b32_e64 v6, 0, v6, s4
	v_cmp_nlt_f32_e64 s4, 0x42b17218, |v1|
	v_sub_f32_e32 v5, v5, v8
	v_cndmask_b32_e64 v1, 0x7f800000, v6, s4
	v_cndmask_b32_e32 v6, v7, v11, vcc_lo
	v_mul_f32_e32 v5, 0.5, v5
	v_cmp_class_f32_e64 vcc_lo, v10, 0x260
	v_mul_f32_e32 v1, v1, v5
	v_cndmask_b32_e32 v6, v6, v10, vcc_lo
	v_div_scale_f32 v5, null, v6, v6, v1
	v_rcp_f32_e32 v7, v5
	v_fma_f32 v8, -v5, v7, 1.0
	v_fmac_f32_e32 v7, v8, v7
	v_div_scale_f32 v8, vcc_lo, v1, v6, v1
	v_mul_f32_e32 v10, v8, v7
	v_fma_f32 v11, -v5, v10, v8
	v_fmac_f32_e32 v10, v11, v7
	v_fma_f32 v5, -v5, v10, v8
	v_div_fmas_f32 v5, v5, v7, v10
	v_div_fixup_f32 v5, v5, v6, v1
.LBB11_7:
	s_or_b32 exec_lo, exec_lo, s5
	v_cmp_ge_f32_e64 s4, 0x41000000, |v2|
	v_mul_f32_e64 v1, 0x3fb8aa3b, |v2|
	s_and_saveexec_b32 s5, s4
	s_xor_b32 s4, exec_lo, s5
	s_cbranch_execz .LBB11_9
; %bb.8:
	v_fma_f32 v6, |v2|, 0.5, -2.0
	s_mov_b32 s5, 0xa2a2e5b9
	v_rndne_f32_e32 v10, v1
	v_fma_f32 v11, 0x3fb8aa3b, |v2|, -v1
	v_cmp_ngt_f32_e64 vcc_lo, 0xc2ce8ed0, |v2|
	v_fmaak_f32 v7, s5, v6, 0x24199b15
	v_sub_f32_e32 v1, v1, v10
	v_fma_f32 v11, 0x32a5705f, |v2|, v11
	v_cvt_i32_f32_e32 v10, v10
	v_fmaak_f32 v8, v6, v7, 0x22a2e5b9
	v_add_f32_e32 v1, v1, v11
	v_add_f32_e32 v8, 0xa58c275c, v8
	v_exp_f32_e32 v1, v1
	v_fma_f32 v7, v6, v8, -v7
	v_add_f32_e32 v7, 0x26f736c5, v7
	v_ldexp_f32 v1, v1, v10
	v_fma_f32 v8, v6, v7, -v8
	v_cndmask_b32_e32 v1, 0, v1, vcc_lo
	v_cmp_nlt_f32_e64 vcc_lo, 0x42b17218, |v2|
	v_add_f32_e32 v8, 0xa8528116, v8
	v_cndmask_b32_e32 v1, 0x7f800000, v1, vcc_lo
	v_fma_f32 v7, v6, v8, -v7
	v_add_f32_e32 v7, 0x29acda32, v7
	v_fma_f32 v8, v6, v7, -v8
	v_add_f32_e32 v8, 0xab08b263, v8
	;; [unrolled: 2-line block ×25, first 2 shown]
	v_sub_f32_e32 v6, v6, v7
	v_mul_f32_e32 v6, 0.5, v6
	v_mul_f32_e32 v6, v1, v6
                                        ; implicit-def: $vgpr1
.LBB11_9:
	s_andn2_saveexec_b32 s5, s4
	s_cbranch_execz .LBB11_11
; %bb.10:
	v_and_b32_e32 v6, 0x7fffffff, v2
	s_mov_b32 s4, 0xa3056dbb
	v_fma_f32 v12, 0x3fb8aa3b, |v2|, -v1
	v_div_scale_f32 v7, null, v6, v6, 0x42000000
	v_div_scale_f32 v6, vcc_lo, 0x42000000, v6, 0x42000000
	v_fma_f32 v12, 0x32a5705f, |v2|, v12
	v_rcp_f32_e32 v8, v7
	v_fma_f32 v10, -v7, v8, 1.0
	v_fmac_f32_e32 v8, v10, v8
	v_mul_f32_e32 v10, v6, v8
	v_fma_f32 v11, -v7, v10, v6
	v_fmac_f32_e32 v10, v11, v8
	v_rndne_f32_e32 v11, v1
	v_fma_f32 v6, -v7, v10, v6
	v_sub_f32_e32 v1, v1, v11
	v_cvt_i32_f32_e32 v11, v11
	v_div_fmas_f32 v6, v6, v8, v10
	v_mul_f32_e64 v10, 0x4f800000, |v2|
	v_cmp_gt_f32_e64 vcc_lo, 0xf800000, |v2|
	v_add_f32_e32 v1, v1, v12
	v_div_fixup_f32 v6, v6, |v2|, 0x42000000
	v_cndmask_b32_e64 v10, |v2|, v10, vcc_lo
	v_exp_f32_e32 v1, v1
	v_add_f32_e32 v6, -2.0, v6
	v_sqrt_f32_e32 v13, v10
	v_fmaak_f32 v7, s4, v6, 0xa2b236d3
	v_ldexp_f32 v1, v1, v11
	v_fmaak_f32 v8, v6, v7, 0x23056dbb
	v_add_nc_u32_e32 v12, -1, v13
	v_add_nc_u32_e32 v14, 1, v13
	v_add_f32_e32 v8, 0x244df0c1, v8
	v_fma_f32 v15, -v12, v13, v10
	v_fma_f32 v16, -v14, v13, v10
	v_fma_f32 v7, v6, v8, -v7
	v_cmp_ge_f32_e64 s4, 0, v15
	v_add_f32_e32 v7, 0x241f9ee8, v7
	v_cndmask_b32_e64 v12, v13, v12, s4
	v_cmp_lt_f32_e64 s4, 0, v16
	v_fma_f32 v8, v6, v7, -v8
	v_add_f32_e32 v8, 0xa5a3005d, v8
	v_fma_f32 v7, v6, v8, -v7
	v_add_f32_e32 v7, 0xa5c5773f, v7
	;; [unrolled: 2-line block ×20, first 2 shown]
	v_fma_f32 v6, v6, v7, -v8
	v_cndmask_b32_e64 v7, v12, v14, s4
	v_cmp_ngt_f32_e64 s4, 0xc2ce8ed0, |v2|
	v_add_f32_e32 v6, 0x3f4df315, v6
	v_mul_f32_e32 v11, 0x37800000, v7
	v_cndmask_b32_e64 v1, 0, v1, s4
	v_cmp_nlt_f32_e64 s4, 0x42b17218, |v2|
	v_sub_f32_e32 v6, v6, v8
	v_cndmask_b32_e32 v2, v7, v11, vcc_lo
	v_cmp_class_f32_e64 vcc_lo, v10, 0x260
	v_cndmask_b32_e64 v1, 0x7f800000, v1, s4
	v_mul_f32_e32 v6, 0.5, v6
	v_cndmask_b32_e32 v2, v2, v10, vcc_lo
	v_mul_f32_e32 v1, v1, v6
	v_div_scale_f32 v6, null, v2, v2, v1
	v_rcp_f32_e32 v7, v6
	v_fma_f32 v8, -v6, v7, 1.0
	v_fmac_f32_e32 v7, v8, v7
	v_div_scale_f32 v8, vcc_lo, v1, v2, v1
	v_mul_f32_e32 v10, v8, v7
	v_fma_f32 v11, -v6, v10, v8
	v_fmac_f32_e32 v10, v11, v7
	v_fma_f32 v6, -v6, v10, v8
	v_div_fmas_f32 v6, v6, v7, v10
	v_div_fixup_f32 v6, v6, v2, v1
.LBB11_11:
	s_or_b32 exec_lo, exec_lo, s5
	v_cmp_ge_f32_e64 s4, 0x41000000, |v3|
	v_mul_f32_e64 v1, 0x3fb8aa3b, |v3|
	s_and_saveexec_b32 s5, s4
	s_xor_b32 s4, exec_lo, s5
	s_cbranch_execz .LBB11_13
; %bb.12:
	v_fma_f32 v2, |v3|, 0.5, -2.0
	s_mov_b32 s5, 0xa2a2e5b9
	v_rndne_f32_e32 v10, v1
	v_fma_f32 v11, 0x3fb8aa3b, |v3|, -v1
	v_cmp_ngt_f32_e64 vcc_lo, 0xc2ce8ed0, |v3|
	v_fmaak_f32 v7, s5, v2, 0x24199b15
	v_sub_f32_e32 v1, v1, v10
	v_fma_f32 v11, 0x32a5705f, |v3|, v11
	v_cvt_i32_f32_e32 v10, v10
	v_fmaak_f32 v8, v2, v7, 0x22a2e5b9
	v_add_f32_e32 v1, v1, v11
	v_add_f32_e32 v8, 0xa58c275c, v8
	v_exp_f32_e32 v1, v1
	v_fma_f32 v7, v2, v8, -v7
	v_add_f32_e32 v7, 0x26f736c5, v7
	v_ldexp_f32 v1, v1, v10
	v_fma_f32 v8, v2, v7, -v8
	v_cndmask_b32_e32 v1, 0, v1, vcc_lo
	v_cmp_nlt_f32_e64 vcc_lo, 0x42b17218, |v3|
	v_add_f32_e32 v8, 0xa8528116, v8
	v_cndmask_b32_e32 v1, 0x7f800000, v1, vcc_lo
	v_fma_f32 v7, v2, v8, -v7
	v_add_f32_e32 v7, 0x29acda32, v7
	v_fma_f32 v8, v2, v7, -v8
	v_add_f32_e32 v8, 0xab08b263, v8
	;; [unrolled: 2-line block ×25, first 2 shown]
	v_sub_f32_e32 v2, v2, v7
	v_mul_f32_e32 v2, 0.5, v2
	v_mul_f32_e32 v7, v1, v2
                                        ; implicit-def: $vgpr1
.LBB11_13:
	s_andn2_saveexec_b32 s5, s4
	s_cbranch_execz .LBB11_15
; %bb.14:
	v_and_b32_e32 v2, 0x7fffffff, v3
	s_mov_b32 s4, 0xa3056dbb
	v_fma_f32 v12, 0x3fb8aa3b, |v3|, -v1
	v_div_scale_f32 v7, null, v2, v2, 0x42000000
	v_div_scale_f32 v2, vcc_lo, 0x42000000, v2, 0x42000000
	v_fma_f32 v12, 0x32a5705f, |v3|, v12
	v_rcp_f32_e32 v8, v7
	v_fma_f32 v10, -v7, v8, 1.0
	v_fmac_f32_e32 v8, v10, v8
	v_mul_f32_e32 v10, v2, v8
	v_fma_f32 v11, -v7, v10, v2
	v_fmac_f32_e32 v10, v11, v8
	v_rndne_f32_e32 v11, v1
	v_fma_f32 v2, -v7, v10, v2
	v_sub_f32_e32 v1, v1, v11
	v_cvt_i32_f32_e32 v11, v11
	v_div_fmas_f32 v2, v2, v8, v10
	v_mul_f32_e64 v10, 0x4f800000, |v3|
	v_cmp_gt_f32_e64 vcc_lo, 0xf800000, |v3|
	v_add_f32_e32 v1, v1, v12
	v_div_fixup_f32 v2, v2, |v3|, 0x42000000
	v_cndmask_b32_e64 v10, |v3|, v10, vcc_lo
	v_exp_f32_e32 v1, v1
	v_add_f32_e32 v2, -2.0, v2
	v_sqrt_f32_e32 v13, v10
	v_fmaak_f32 v7, s4, v2, 0xa2b236d3
	v_ldexp_f32 v1, v1, v11
	v_fmaak_f32 v8, v2, v7, 0x23056dbb
	v_add_nc_u32_e32 v12, -1, v13
	v_add_nc_u32_e32 v14, 1, v13
	v_add_f32_e32 v8, 0x244df0c1, v8
	v_fma_f32 v15, -v12, v13, v10
	v_fma_f32 v16, -v14, v13, v10
	v_fma_f32 v7, v2, v8, -v7
	v_cmp_ge_f32_e64 s4, 0, v15
	v_add_f32_e32 v7, 0x241f9ee8, v7
	v_cndmask_b32_e64 v12, v13, v12, s4
	v_cmp_lt_f32_e64 s4, 0, v16
	v_fma_f32 v8, v2, v7, -v8
	v_add_f32_e32 v8, 0xa5a3005d, v8
	v_fma_f32 v7, v2, v8, -v7
	v_add_f32_e32 v7, 0xa5c5773f, v7
	;; [unrolled: 2-line block ×20, first 2 shown]
	v_fma_f32 v2, v2, v7, -v8
	v_cndmask_b32_e64 v7, v12, v14, s4
	v_cmp_ngt_f32_e64 s4, 0xc2ce8ed0, |v3|
	v_add_f32_e32 v2, 0x3f4df315, v2
	v_mul_f32_e32 v11, 0x37800000, v7
	v_cndmask_b32_e64 v1, 0, v1, s4
	v_cmp_nlt_f32_e64 s4, 0x42b17218, |v3|
	v_sub_f32_e32 v2, v2, v8
	v_cndmask_b32_e32 v3, v7, v11, vcc_lo
	v_cmp_class_f32_e64 vcc_lo, v10, 0x260
	v_cndmask_b32_e64 v1, 0x7f800000, v1, s4
	v_mul_f32_e32 v2, 0.5, v2
	v_cndmask_b32_e32 v3, v3, v10, vcc_lo
	v_mul_f32_e32 v1, v1, v2
	v_div_scale_f32 v2, null, v3, v3, v1
	v_rcp_f32_e32 v7, v2
	v_fma_f32 v8, -v2, v7, 1.0
	v_fmac_f32_e32 v7, v8, v7
	v_div_scale_f32 v8, vcc_lo, v1, v3, v1
	v_mul_f32_e32 v10, v8, v7
	v_fma_f32 v11, -v2, v10, v8
	v_fmac_f32_e32 v10, v11, v7
	v_fma_f32 v2, -v2, v10, v8
	v_div_fmas_f32 v2, v2, v7, v10
	v_div_fixup_f32 v7, v2, v3, v1
.LBB11_15:
	s_or_b32 exec_lo, exec_lo, s5
	v_cmp_ge_f32_e64 s4, 0x41000000, |v4|
	v_mul_f32_e64 v1, 0x3fb8aa3b, |v4|
	s_and_saveexec_b32 s5, s4
	s_xor_b32 s4, exec_lo, s5
	s_cbranch_execz .LBB11_17
; %bb.16:
	v_fma_f32 v2, |v4|, 0.5, -2.0
	s_mov_b32 s5, 0xa2a2e5b9
	v_rndne_f32_e32 v10, v1
	v_fma_f32 v11, 0x3fb8aa3b, |v4|, -v1
	v_cmp_ngt_f32_e64 vcc_lo, 0xc2ce8ed0, |v4|
	v_fmaak_f32 v3, s5, v2, 0x24199b15
	v_sub_f32_e32 v1, v1, v10
	v_fma_f32 v11, 0x32a5705f, |v4|, v11
	v_cvt_i32_f32_e32 v10, v10
	v_fmaak_f32 v8, v2, v3, 0x22a2e5b9
	v_add_f32_e32 v1, v1, v11
	v_add_f32_e32 v8, 0xa58c275c, v8
	v_exp_f32_e32 v1, v1
	v_fma_f32 v3, v2, v8, -v3
	v_add_f32_e32 v3, 0x26f736c5, v3
	v_ldexp_f32 v1, v1, v10
	v_fma_f32 v8, v2, v3, -v8
	v_cndmask_b32_e32 v1, 0, v1, vcc_lo
	v_cmp_nlt_f32_e64 vcc_lo, 0x42b17218, |v4|
	v_add_f32_e32 v8, 0xa8528116, v8
	v_cndmask_b32_e32 v1, 0x7f800000, v1, vcc_lo
	v_fma_f32 v3, v2, v8, -v3
	v_add_f32_e32 v3, 0x29acda32, v3
	v_fma_f32 v8, v2, v3, -v8
	v_add_f32_e32 v8, 0xab08b263, v8
	;; [unrolled: 2-line block ×25, first 2 shown]
	v_sub_f32_e32 v2, v2, v3
	v_mul_f32_e32 v2, 0.5, v2
	v_mul_f32_e32 v8, v1, v2
                                        ; implicit-def: $vgpr1_vgpr2_vgpr3_vgpr4
                                        ; implicit-def: $vgpr1
.LBB11_17:
	s_andn2_saveexec_b32 s5, s4
	s_cbranch_execz .LBB11_19
; %bb.18:
	v_and_b32_e32 v2, 0x7fffffff, v4
	s_mov_b32 s4, 0xa3056dbb
	v_fma_f32 v12, 0x3fb8aa3b, |v4|, -v1
	v_div_scale_f32 v3, null, v2, v2, 0x42000000
	v_div_scale_f32 v2, vcc_lo, 0x42000000, v2, 0x42000000
	v_fma_f32 v12, 0x32a5705f, |v4|, v12
	v_rcp_f32_e32 v8, v3
	v_fma_f32 v10, -v3, v8, 1.0
	v_fmac_f32_e32 v8, v10, v8
	v_mul_f32_e32 v10, v2, v8
	v_fma_f32 v11, -v3, v10, v2
	v_fmac_f32_e32 v10, v11, v8
	v_rndne_f32_e32 v11, v1
	v_fma_f32 v2, -v3, v10, v2
	v_sub_f32_e32 v1, v1, v11
	v_cvt_i32_f32_e32 v11, v11
	v_div_fmas_f32 v2, v2, v8, v10
	v_mul_f32_e64 v10, 0x4f800000, |v4|
	v_cmp_gt_f32_e64 vcc_lo, 0xf800000, |v4|
	v_add_f32_e32 v1, v1, v12
	v_div_fixup_f32 v2, v2, |v4|, 0x42000000
	v_cndmask_b32_e64 v10, |v4|, v10, vcc_lo
	v_exp_f32_e32 v1, v1
	v_add_f32_e32 v2, -2.0, v2
	v_sqrt_f32_e32 v13, v10
	v_fmaak_f32 v3, s4, v2, 0xa2b236d3
	v_ldexp_f32 v1, v1, v11
	v_fmaak_f32 v8, v2, v3, 0x23056dbb
	v_add_nc_u32_e32 v12, -1, v13
	v_add_nc_u32_e32 v14, 1, v13
	v_add_f32_e32 v8, 0x244df0c1, v8
	v_fma_f32 v15, -v12, v13, v10
	v_fma_f32 v16, -v14, v13, v10
	v_fma_f32 v3, v2, v8, -v3
	v_cmp_ge_f32_e64 s4, 0, v15
	v_add_f32_e32 v3, 0x241f9ee8, v3
	v_cndmask_b32_e64 v12, v13, v12, s4
	v_cmp_lt_f32_e64 s4, 0, v16
	v_fma_f32 v8, v2, v3, -v8
	v_add_f32_e32 v8, 0xa5a3005d, v8
	v_fma_f32 v3, v2, v8, -v3
	v_add_f32_e32 v3, 0xa5c5773f, v3
	;; [unrolled: 2-line block ×20, first 2 shown]
	v_fma_f32 v2, v2, v3, -v8
	v_cndmask_b32_e64 v3, v12, v14, s4
	v_cmp_ngt_f32_e64 s4, 0xc2ce8ed0, |v4|
	v_add_f32_e32 v2, 0x3f4df315, v2
	v_mul_f32_e32 v11, 0x37800000, v3
	v_cndmask_b32_e64 v1, 0, v1, s4
	v_cmp_nlt_f32_e64 s4, 0x42b17218, |v4|
	v_sub_f32_e32 v2, v2, v8
	v_cndmask_b32_e32 v3, v3, v11, vcc_lo
	v_cmp_class_f32_e64 vcc_lo, v10, 0x260
	v_cndmask_b32_e64 v1, 0x7f800000, v1, s4
	v_mul_f32_e32 v2, 0.5, v2
	v_cndmask_b32_e32 v3, v3, v10, vcc_lo
	v_mul_f32_e32 v1, v1, v2
	v_div_scale_f32 v2, null, v3, v3, v1
	v_rcp_f32_e32 v4, v2
	v_fma_f32 v8, -v2, v4, 1.0
	v_fmac_f32_e32 v4, v8, v4
	v_div_scale_f32 v8, vcc_lo, v1, v3, v1
	v_mul_f32_e32 v10, v8, v4
	v_fma_f32 v11, -v2, v10, v8
	v_fmac_f32_e32 v10, v11, v4
	v_fma_f32 v2, -v2, v10, v8
	v_div_fmas_f32 v2, v2, v4, v10
	v_div_fixup_f32 v8, v2, v3, v1
.LBB11_19:
	s_or_b32 exec_lo, exec_lo, s5
	s_add_u32 s12, s8, s12
	s_addc_u32 s13, s9, s13
	global_store_dwordx4 v9, v[5:8], s[12:13]
	s_branch .LBB11_2
.LBB11_20:
	v_mov_b32_e32 v31, v0
	v_mov_b32_e32 v0, s8
	;; [unrolled: 1-line block ×6, first 2 shown]
	s_getpc_b64 s[4:5]
	s_add_u32 s4, s4, _ZN2at6native25elementwise_kernel_helperILb0EZZZNS0_12_GLOBAL__N_130modified_bessel_i0_kernel_cudaERNS_18TensorIteratorBaseEENKUlvE_clEvENKUlvE0_clEvEUlfE_NS0_6memory8policies11unroll_baseILi256ESt5arrayIPcLm2EE23TrivialOffsetCalculatorILi1EjESF_NS8_15LoadWithoutCastENS8_16StoreWithoutCastELi4ELi1EEEEEvT0_T1_@rel32@lo+4
	s_addc_u32 s5, s5, _ZN2at6native25elementwise_kernel_helperILb0EZZZNS0_12_GLOBAL__N_130modified_bessel_i0_kernel_cudaERNS_18TensorIteratorBaseEENKUlvE_clEvENKUlvE0_clEvEUlfE_NS0_6memory8policies11unroll_baseILi256ESt5arrayIPcLm2EE23TrivialOffsetCalculatorILi1EjESF_NS8_15LoadWithoutCastENS8_16StoreWithoutCastELi4ELi1EEEEEvT0_T1_@rel32@hi+12
	s_mov_b32 s12, s6
	s_swappc_b64 s[30:31], s[4:5]
	s_endpgm
	.section	.rodata,"a",@progbits
	.p2align	6, 0x0
	.amdhsa_kernel _ZN2at6native29vectorized_elementwise_kernelILi16EZZZNS0_12_GLOBAL__N_130modified_bessel_i0_kernel_cudaERNS_18TensorIteratorBaseEENKUlvE_clEvENKUlvE0_clEvEUlfE_St5arrayIPcLm2EEEEviT0_T1_
		.amdhsa_group_segment_fixed_size 0
		.amdhsa_private_segment_fixed_size 0
		.amdhsa_kernarg_size 24
		.amdhsa_user_sgpr_count 6
		.amdhsa_user_sgpr_private_segment_buffer 1
		.amdhsa_user_sgpr_dispatch_ptr 0
		.amdhsa_user_sgpr_queue_ptr 0
		.amdhsa_user_sgpr_kernarg_segment_ptr 1
		.amdhsa_user_sgpr_dispatch_id 0
		.amdhsa_user_sgpr_flat_scratch_init 0
		.amdhsa_user_sgpr_private_segment_size 0
		.amdhsa_wavefront_size32 1
		.amdhsa_uses_dynamic_stack 0
		.amdhsa_system_sgpr_private_segment_wavefront_offset 0
		.amdhsa_system_sgpr_workgroup_id_x 1
		.amdhsa_system_sgpr_workgroup_id_y 0
		.amdhsa_system_sgpr_workgroup_id_z 0
		.amdhsa_system_sgpr_workgroup_info 0
		.amdhsa_system_vgpr_workitem_id 0
		.amdhsa_next_free_vgpr 32
		.amdhsa_next_free_sgpr 33
		.amdhsa_reserve_vcc 1
		.amdhsa_reserve_flat_scratch 0
		.amdhsa_float_round_mode_32 0
		.amdhsa_float_round_mode_16_64 0
		.amdhsa_float_denorm_mode_32 3
		.amdhsa_float_denorm_mode_16_64 3
		.amdhsa_dx10_clamp 1
		.amdhsa_ieee_mode 1
		.amdhsa_fp16_overflow 0
		.amdhsa_workgroup_processor_mode 1
		.amdhsa_memory_ordered 1
		.amdhsa_forward_progress 1
		.amdhsa_shared_vgpr_count 0
		.amdhsa_exception_fp_ieee_invalid_op 0
		.amdhsa_exception_fp_denorm_src 0
		.amdhsa_exception_fp_ieee_div_zero 0
		.amdhsa_exception_fp_ieee_overflow 0
		.amdhsa_exception_fp_ieee_underflow 0
		.amdhsa_exception_fp_ieee_inexact 0
		.amdhsa_exception_int_div_zero 0
	.end_amdhsa_kernel
	.section	.text._ZN2at6native29vectorized_elementwise_kernelILi16EZZZNS0_12_GLOBAL__N_130modified_bessel_i0_kernel_cudaERNS_18TensorIteratorBaseEENKUlvE_clEvENKUlvE0_clEvEUlfE_St5arrayIPcLm2EEEEviT0_T1_,"axG",@progbits,_ZN2at6native29vectorized_elementwise_kernelILi16EZZZNS0_12_GLOBAL__N_130modified_bessel_i0_kernel_cudaERNS_18TensorIteratorBaseEENKUlvE_clEvENKUlvE0_clEvEUlfE_St5arrayIPcLm2EEEEviT0_T1_,comdat
.Lfunc_end11:
	.size	_ZN2at6native29vectorized_elementwise_kernelILi16EZZZNS0_12_GLOBAL__N_130modified_bessel_i0_kernel_cudaERNS_18TensorIteratorBaseEENKUlvE_clEvENKUlvE0_clEvEUlfE_St5arrayIPcLm2EEEEviT0_T1_, .Lfunc_end11-_ZN2at6native29vectorized_elementwise_kernelILi16EZZZNS0_12_GLOBAL__N_130modified_bessel_i0_kernel_cudaERNS_18TensorIteratorBaseEENKUlvE_clEvENKUlvE0_clEvEUlfE_St5arrayIPcLm2EEEEviT0_T1_
                                        ; -- End function
	.set _ZN2at6native29vectorized_elementwise_kernelILi16EZZZNS0_12_GLOBAL__N_130modified_bessel_i0_kernel_cudaERNS_18TensorIteratorBaseEENKUlvE_clEvENKUlvE0_clEvEUlfE_St5arrayIPcLm2EEEEviT0_T1_.num_vgpr, max(32, .L_ZN2at6native25elementwise_kernel_helperILb0EZZZNS0_12_GLOBAL__N_130modified_bessel_i0_kernel_cudaERNS_18TensorIteratorBaseEENKUlvE_clEvENKUlvE0_clEvEUlfE_NS0_6memory8policies11unroll_baseILi256ESt5arrayIPcLm2EE23TrivialOffsetCalculatorILi1EjESF_NS8_15LoadWithoutCastENS8_16StoreWithoutCastELi4ELi1EEEEEvT0_T1_.num_vgpr)
	.set _ZN2at6native29vectorized_elementwise_kernelILi16EZZZNS0_12_GLOBAL__N_130modified_bessel_i0_kernel_cudaERNS_18TensorIteratorBaseEENKUlvE_clEvENKUlvE0_clEvEUlfE_St5arrayIPcLm2EEEEviT0_T1_.num_agpr, max(0, .L_ZN2at6native25elementwise_kernel_helperILb0EZZZNS0_12_GLOBAL__N_130modified_bessel_i0_kernel_cudaERNS_18TensorIteratorBaseEENKUlvE_clEvENKUlvE0_clEvEUlfE_NS0_6memory8policies11unroll_baseILi256ESt5arrayIPcLm2EE23TrivialOffsetCalculatorILi1EjESF_NS8_15LoadWithoutCastENS8_16StoreWithoutCastELi4ELi1EEEEEvT0_T1_.num_agpr)
	.set _ZN2at6native29vectorized_elementwise_kernelILi16EZZZNS0_12_GLOBAL__N_130modified_bessel_i0_kernel_cudaERNS_18TensorIteratorBaseEENKUlvE_clEvENKUlvE0_clEvEUlfE_St5arrayIPcLm2EEEEviT0_T1_.numbered_sgpr, max(33, .L_ZN2at6native25elementwise_kernel_helperILb0EZZZNS0_12_GLOBAL__N_130modified_bessel_i0_kernel_cudaERNS_18TensorIteratorBaseEENKUlvE_clEvENKUlvE0_clEvEUlfE_NS0_6memory8policies11unroll_baseILi256ESt5arrayIPcLm2EE23TrivialOffsetCalculatorILi1EjESF_NS8_15LoadWithoutCastENS8_16StoreWithoutCastELi4ELi1EEEEEvT0_T1_.numbered_sgpr)
	.set _ZN2at6native29vectorized_elementwise_kernelILi16EZZZNS0_12_GLOBAL__N_130modified_bessel_i0_kernel_cudaERNS_18TensorIteratorBaseEENKUlvE_clEvENKUlvE0_clEvEUlfE_St5arrayIPcLm2EEEEviT0_T1_.num_named_barrier, max(0, .L_ZN2at6native25elementwise_kernel_helperILb0EZZZNS0_12_GLOBAL__N_130modified_bessel_i0_kernel_cudaERNS_18TensorIteratorBaseEENKUlvE_clEvENKUlvE0_clEvEUlfE_NS0_6memory8policies11unroll_baseILi256ESt5arrayIPcLm2EE23TrivialOffsetCalculatorILi1EjESF_NS8_15LoadWithoutCastENS8_16StoreWithoutCastELi4ELi1EEEEEvT0_T1_.num_named_barrier)
	.set _ZN2at6native29vectorized_elementwise_kernelILi16EZZZNS0_12_GLOBAL__N_130modified_bessel_i0_kernel_cudaERNS_18TensorIteratorBaseEENKUlvE_clEvENKUlvE0_clEvEUlfE_St5arrayIPcLm2EEEEviT0_T1_.private_seg_size, 0+max(.L_ZN2at6native25elementwise_kernel_helperILb0EZZZNS0_12_GLOBAL__N_130modified_bessel_i0_kernel_cudaERNS_18TensorIteratorBaseEENKUlvE_clEvENKUlvE0_clEvEUlfE_NS0_6memory8policies11unroll_baseILi256ESt5arrayIPcLm2EE23TrivialOffsetCalculatorILi1EjESF_NS8_15LoadWithoutCastENS8_16StoreWithoutCastELi4ELi1EEEEEvT0_T1_.private_seg_size)
	.set _ZN2at6native29vectorized_elementwise_kernelILi16EZZZNS0_12_GLOBAL__N_130modified_bessel_i0_kernel_cudaERNS_18TensorIteratorBaseEENKUlvE_clEvENKUlvE0_clEvEUlfE_St5arrayIPcLm2EEEEviT0_T1_.uses_vcc, or(1, .L_ZN2at6native25elementwise_kernel_helperILb0EZZZNS0_12_GLOBAL__N_130modified_bessel_i0_kernel_cudaERNS_18TensorIteratorBaseEENKUlvE_clEvENKUlvE0_clEvEUlfE_NS0_6memory8policies11unroll_baseILi256ESt5arrayIPcLm2EE23TrivialOffsetCalculatorILi1EjESF_NS8_15LoadWithoutCastENS8_16StoreWithoutCastELi4ELi1EEEEEvT0_T1_.uses_vcc)
	.set _ZN2at6native29vectorized_elementwise_kernelILi16EZZZNS0_12_GLOBAL__N_130modified_bessel_i0_kernel_cudaERNS_18TensorIteratorBaseEENKUlvE_clEvENKUlvE0_clEvEUlfE_St5arrayIPcLm2EEEEviT0_T1_.uses_flat_scratch, or(0, .L_ZN2at6native25elementwise_kernel_helperILb0EZZZNS0_12_GLOBAL__N_130modified_bessel_i0_kernel_cudaERNS_18TensorIteratorBaseEENKUlvE_clEvENKUlvE0_clEvEUlfE_NS0_6memory8policies11unroll_baseILi256ESt5arrayIPcLm2EE23TrivialOffsetCalculatorILi1EjESF_NS8_15LoadWithoutCastENS8_16StoreWithoutCastELi4ELi1EEEEEvT0_T1_.uses_flat_scratch)
	.set _ZN2at6native29vectorized_elementwise_kernelILi16EZZZNS0_12_GLOBAL__N_130modified_bessel_i0_kernel_cudaERNS_18TensorIteratorBaseEENKUlvE_clEvENKUlvE0_clEvEUlfE_St5arrayIPcLm2EEEEviT0_T1_.has_dyn_sized_stack, or(0, .L_ZN2at6native25elementwise_kernel_helperILb0EZZZNS0_12_GLOBAL__N_130modified_bessel_i0_kernel_cudaERNS_18TensorIteratorBaseEENKUlvE_clEvENKUlvE0_clEvEUlfE_NS0_6memory8policies11unroll_baseILi256ESt5arrayIPcLm2EE23TrivialOffsetCalculatorILi1EjESF_NS8_15LoadWithoutCastENS8_16StoreWithoutCastELi4ELi1EEEEEvT0_T1_.has_dyn_sized_stack)
	.set _ZN2at6native29vectorized_elementwise_kernelILi16EZZZNS0_12_GLOBAL__N_130modified_bessel_i0_kernel_cudaERNS_18TensorIteratorBaseEENKUlvE_clEvENKUlvE0_clEvEUlfE_St5arrayIPcLm2EEEEviT0_T1_.has_recursion, or(0, .L_ZN2at6native25elementwise_kernel_helperILb0EZZZNS0_12_GLOBAL__N_130modified_bessel_i0_kernel_cudaERNS_18TensorIteratorBaseEENKUlvE_clEvENKUlvE0_clEvEUlfE_NS0_6memory8policies11unroll_baseILi256ESt5arrayIPcLm2EE23TrivialOffsetCalculatorILi1EjESF_NS8_15LoadWithoutCastENS8_16StoreWithoutCastELi4ELi1EEEEEvT0_T1_.has_recursion)
	.set _ZN2at6native29vectorized_elementwise_kernelILi16EZZZNS0_12_GLOBAL__N_130modified_bessel_i0_kernel_cudaERNS_18TensorIteratorBaseEENKUlvE_clEvENKUlvE0_clEvEUlfE_St5arrayIPcLm2EEEEviT0_T1_.has_indirect_call, or(0, .L_ZN2at6native25elementwise_kernel_helperILb0EZZZNS0_12_GLOBAL__N_130modified_bessel_i0_kernel_cudaERNS_18TensorIteratorBaseEENKUlvE_clEvENKUlvE0_clEvEUlfE_NS0_6memory8policies11unroll_baseILi256ESt5arrayIPcLm2EE23TrivialOffsetCalculatorILi1EjESF_NS8_15LoadWithoutCastENS8_16StoreWithoutCastELi4ELi1EEEEEvT0_T1_.has_indirect_call)
	.section	.AMDGPU.csdata,"",@progbits
; Kernel info:
; codeLenInByte = 5776
; TotalNumSgprs: 35
; NumVgprs: 32
; ScratchSize: 0
; MemoryBound: 0
; FloatMode: 240
; IeeeMode: 1
; LDSByteSize: 0 bytes/workgroup (compile time only)
; SGPRBlocks: 0
; VGPRBlocks: 3
; NumSGPRsForWavesPerEU: 35
; NumVGPRsForWavesPerEU: 32
; Occupancy: 16
; WaveLimiterHint : 0
; COMPUTE_PGM_RSRC2:SCRATCH_EN: 0
; COMPUTE_PGM_RSRC2:USER_SGPR: 6
; COMPUTE_PGM_RSRC2:TRAP_HANDLER: 0
; COMPUTE_PGM_RSRC2:TGID_X_EN: 1
; COMPUTE_PGM_RSRC2:TGID_Y_EN: 0
; COMPUTE_PGM_RSRC2:TGID_Z_EN: 0
; COMPUTE_PGM_RSRC2:TIDIG_COMP_CNT: 0
	.section	.text._ZN2at6native29vectorized_elementwise_kernelILi8EZZZNS0_12_GLOBAL__N_130modified_bessel_i0_kernel_cudaERNS_18TensorIteratorBaseEENKUlvE_clEvENKUlvE0_clEvEUlfE_St5arrayIPcLm2EEEEviT0_T1_,"axG",@progbits,_ZN2at6native29vectorized_elementwise_kernelILi8EZZZNS0_12_GLOBAL__N_130modified_bessel_i0_kernel_cudaERNS_18TensorIteratorBaseEENKUlvE_clEvENKUlvE0_clEvEUlfE_St5arrayIPcLm2EEEEviT0_T1_,comdat
	.globl	_ZN2at6native29vectorized_elementwise_kernelILi8EZZZNS0_12_GLOBAL__N_130modified_bessel_i0_kernel_cudaERNS_18TensorIteratorBaseEENKUlvE_clEvENKUlvE0_clEvEUlfE_St5arrayIPcLm2EEEEviT0_T1_ ; -- Begin function _ZN2at6native29vectorized_elementwise_kernelILi8EZZZNS0_12_GLOBAL__N_130modified_bessel_i0_kernel_cudaERNS_18TensorIteratorBaseEENKUlvE_clEvENKUlvE0_clEvEUlfE_St5arrayIPcLm2EEEEviT0_T1_
	.p2align	8
	.type	_ZN2at6native29vectorized_elementwise_kernelILi8EZZZNS0_12_GLOBAL__N_130modified_bessel_i0_kernel_cudaERNS_18TensorIteratorBaseEENKUlvE_clEvENKUlvE0_clEvEUlfE_St5arrayIPcLm2EEEEviT0_T1_,@function
_ZN2at6native29vectorized_elementwise_kernelILi8EZZZNS0_12_GLOBAL__N_130modified_bessel_i0_kernel_cudaERNS_18TensorIteratorBaseEENKUlvE_clEvENKUlvE0_clEvEUlfE_St5arrayIPcLm2EEEEviT0_T1_: ; @_ZN2at6native29vectorized_elementwise_kernelILi8EZZZNS0_12_GLOBAL__N_130modified_bessel_i0_kernel_cudaERNS_18TensorIteratorBaseEENKUlvE_clEvENKUlvE0_clEvEUlfE_St5arrayIPcLm2EEEEviT0_T1_
; %bb.0:
	s_add_u32 s0, s0, s7
	s_clause 0x1
	s_load_dword s7, s[4:5], 0x0
	s_load_dwordx4 s[8:11], s[4:5], 0x8
	s_addc_u32 s1, s1, 0
	s_lshl_b32 s4, s6, 10
	s_mov_b32 s5, -1
	s_mov_b32 s32, 0
	s_waitcnt lgkmcnt(0)
	s_sub_i32 s7, s7, s4
	s_cmpk_gt_i32 s7, 0x3ff
	s_cbranch_scc1 .LBB12_3
; %bb.1:
	s_and_b32 vcc_lo, exec_lo, s5
	s_cbranch_vccnz .LBB12_20
.LBB12_2:
	s_endpgm
.LBB12_3:
	s_ashr_i32 s5, s4, 31
	v_lshlrev_b32_e32 v9, 4, v0
	s_lshl_b64 s[12:13], s[4:5], 2
                                        ; implicit-def: $vgpr5
	s_add_u32 s4, s10, s12
	s_addc_u32 s5, s11, s13
	global_load_dwordx4 v[1:4], v9, s[4:5]
	s_waitcnt vmcnt(0)
	v_cmp_ge_f32_e64 s4, 0x41000000, |v1|
	v_mul_f32_e64 v6, 0x3fb8aa3b, |v1|
	s_and_saveexec_b32 s5, s4
	s_xor_b32 s4, exec_lo, s5
	s_cbranch_execz .LBB12_5
; %bb.4:
	v_fma_f32 v5, |v1|, 0.5, -2.0
	s_mov_b32 s5, 0xa2a2e5b9
	v_rndne_f32_e32 v10, v6
	v_fma_f32 v11, 0x3fb8aa3b, |v1|, -v6
	v_cmp_ngt_f32_e64 vcc_lo, 0xc2ce8ed0, |v1|
	v_fmaak_f32 v7, s5, v5, 0x24199b15
	v_sub_f32_e32 v6, v6, v10
	v_fma_f32 v11, 0x32a5705f, |v1|, v11
	v_cvt_i32_f32_e32 v10, v10
	v_fmaak_f32 v8, v5, v7, 0x22a2e5b9
	v_add_f32_e32 v6, v6, v11
	v_add_f32_e32 v8, 0xa58c275c, v8
	v_exp_f32_e32 v6, v6
	v_fma_f32 v7, v5, v8, -v7
	v_add_f32_e32 v7, 0x26f736c5, v7
	v_ldexp_f32 v6, v6, v10
	v_fma_f32 v8, v5, v7, -v8
	v_cndmask_b32_e32 v6, 0, v6, vcc_lo
	v_cmp_nlt_f32_e64 vcc_lo, 0x42b17218, |v1|
	v_add_f32_e32 v8, 0xa8528116, v8
	v_cndmask_b32_e32 v6, 0x7f800000, v6, vcc_lo
	v_fma_f32 v7, v5, v8, -v7
	v_add_f32_e32 v7, 0x29acda32, v7
	v_fma_f32 v8, v5, v7, -v8
	v_add_f32_e32 v8, 0xab08b263, v8
	;; [unrolled: 2-line block ×25, first 2 shown]
	v_sub_f32_e32 v5, v5, v7
	v_mul_f32_e32 v5, 0.5, v5
	v_mul_f32_e32 v5, v6, v5
                                        ; implicit-def: $vgpr6
.LBB12_5:
	s_andn2_saveexec_b32 s5, s4
	s_cbranch_execz .LBB12_7
; %bb.6:
	v_and_b32_e32 v5, 0x7fffffff, v1
	s_mov_b32 s4, 0xa3056dbb
	v_fma_f32 v12, 0x3fb8aa3b, |v1|, -v6
	v_div_scale_f32 v7, null, v5, v5, 0x42000000
	v_div_scale_f32 v5, vcc_lo, 0x42000000, v5, 0x42000000
	v_fma_f32 v12, 0x32a5705f, |v1|, v12
	v_rcp_f32_e32 v8, v7
	v_fma_f32 v10, -v7, v8, 1.0
	v_fmac_f32_e32 v8, v10, v8
	v_mul_f32_e32 v10, v5, v8
	v_fma_f32 v11, -v7, v10, v5
	v_fmac_f32_e32 v10, v11, v8
	v_rndne_f32_e32 v11, v6
	v_fma_f32 v5, -v7, v10, v5
	v_sub_f32_e32 v6, v6, v11
	v_cvt_i32_f32_e32 v11, v11
	v_div_fmas_f32 v5, v5, v8, v10
	v_mul_f32_e64 v10, 0x4f800000, |v1|
	v_cmp_gt_f32_e64 vcc_lo, 0xf800000, |v1|
	v_add_f32_e32 v6, v6, v12
	v_div_fixup_f32 v5, v5, |v1|, 0x42000000
	v_cndmask_b32_e64 v10, |v1|, v10, vcc_lo
	v_exp_f32_e32 v6, v6
	v_add_f32_e32 v5, -2.0, v5
	v_sqrt_f32_e32 v13, v10
	v_fmaak_f32 v7, s4, v5, 0xa2b236d3
	v_ldexp_f32 v6, v6, v11
	v_fmaak_f32 v8, v5, v7, 0x23056dbb
	v_add_nc_u32_e32 v12, -1, v13
	v_add_nc_u32_e32 v14, 1, v13
	v_add_f32_e32 v8, 0x244df0c1, v8
	v_fma_f32 v15, -v12, v13, v10
	v_fma_f32 v16, -v14, v13, v10
	v_fma_f32 v7, v5, v8, -v7
	v_cmp_ge_f32_e64 s4, 0, v15
	v_add_f32_e32 v7, 0x241f9ee8, v7
	v_cndmask_b32_e64 v12, v13, v12, s4
	v_cmp_lt_f32_e64 s4, 0, v16
	v_fma_f32 v8, v5, v7, -v8
	v_add_f32_e32 v8, 0xa5a3005d, v8
	v_fma_f32 v7, v5, v8, -v7
	v_add_f32_e32 v7, 0xa5c5773f, v7
	;; [unrolled: 2-line block ×20, first 2 shown]
	v_fma_f32 v5, v5, v7, -v8
	v_cndmask_b32_e64 v7, v12, v14, s4
	v_cmp_ngt_f32_e64 s4, 0xc2ce8ed0, |v1|
	v_add_f32_e32 v5, 0x3f4df315, v5
	v_mul_f32_e32 v11, 0x37800000, v7
	v_cndmask_b32_e64 v6, 0, v6, s4
	v_cmp_nlt_f32_e64 s4, 0x42b17218, |v1|
	v_sub_f32_e32 v5, v5, v8
	v_cndmask_b32_e64 v1, 0x7f800000, v6, s4
	v_cndmask_b32_e32 v6, v7, v11, vcc_lo
	v_mul_f32_e32 v5, 0.5, v5
	v_cmp_class_f32_e64 vcc_lo, v10, 0x260
	v_mul_f32_e32 v1, v1, v5
	v_cndmask_b32_e32 v6, v6, v10, vcc_lo
	v_div_scale_f32 v5, null, v6, v6, v1
	v_rcp_f32_e32 v7, v5
	v_fma_f32 v8, -v5, v7, 1.0
	v_fmac_f32_e32 v7, v8, v7
	v_div_scale_f32 v8, vcc_lo, v1, v6, v1
	v_mul_f32_e32 v10, v8, v7
	v_fma_f32 v11, -v5, v10, v8
	v_fmac_f32_e32 v10, v11, v7
	v_fma_f32 v5, -v5, v10, v8
	v_div_fmas_f32 v5, v5, v7, v10
	v_div_fixup_f32 v5, v5, v6, v1
.LBB12_7:
	s_or_b32 exec_lo, exec_lo, s5
	v_cmp_ge_f32_e64 s4, 0x41000000, |v2|
	v_mul_f32_e64 v1, 0x3fb8aa3b, |v2|
	s_and_saveexec_b32 s5, s4
	s_xor_b32 s4, exec_lo, s5
	s_cbranch_execz .LBB12_9
; %bb.8:
	v_fma_f32 v6, |v2|, 0.5, -2.0
	s_mov_b32 s5, 0xa2a2e5b9
	v_rndne_f32_e32 v10, v1
	v_fma_f32 v11, 0x3fb8aa3b, |v2|, -v1
	v_cmp_ngt_f32_e64 vcc_lo, 0xc2ce8ed0, |v2|
	v_fmaak_f32 v7, s5, v6, 0x24199b15
	v_sub_f32_e32 v1, v1, v10
	v_fma_f32 v11, 0x32a5705f, |v2|, v11
	v_cvt_i32_f32_e32 v10, v10
	v_fmaak_f32 v8, v6, v7, 0x22a2e5b9
	v_add_f32_e32 v1, v1, v11
	v_add_f32_e32 v8, 0xa58c275c, v8
	v_exp_f32_e32 v1, v1
	v_fma_f32 v7, v6, v8, -v7
	v_add_f32_e32 v7, 0x26f736c5, v7
	v_ldexp_f32 v1, v1, v10
	v_fma_f32 v8, v6, v7, -v8
	v_cndmask_b32_e32 v1, 0, v1, vcc_lo
	v_cmp_nlt_f32_e64 vcc_lo, 0x42b17218, |v2|
	v_add_f32_e32 v8, 0xa8528116, v8
	v_cndmask_b32_e32 v1, 0x7f800000, v1, vcc_lo
	v_fma_f32 v7, v6, v8, -v7
	v_add_f32_e32 v7, 0x29acda32, v7
	v_fma_f32 v8, v6, v7, -v8
	v_add_f32_e32 v8, 0xab08b263, v8
	;; [unrolled: 2-line block ×25, first 2 shown]
	v_sub_f32_e32 v6, v6, v7
	v_mul_f32_e32 v6, 0.5, v6
	v_mul_f32_e32 v6, v1, v6
                                        ; implicit-def: $vgpr1
.LBB12_9:
	s_andn2_saveexec_b32 s5, s4
	s_cbranch_execz .LBB12_11
; %bb.10:
	v_and_b32_e32 v6, 0x7fffffff, v2
	s_mov_b32 s4, 0xa3056dbb
	v_fma_f32 v12, 0x3fb8aa3b, |v2|, -v1
	v_div_scale_f32 v7, null, v6, v6, 0x42000000
	v_div_scale_f32 v6, vcc_lo, 0x42000000, v6, 0x42000000
	v_fma_f32 v12, 0x32a5705f, |v2|, v12
	v_rcp_f32_e32 v8, v7
	v_fma_f32 v10, -v7, v8, 1.0
	v_fmac_f32_e32 v8, v10, v8
	v_mul_f32_e32 v10, v6, v8
	v_fma_f32 v11, -v7, v10, v6
	v_fmac_f32_e32 v10, v11, v8
	v_rndne_f32_e32 v11, v1
	v_fma_f32 v6, -v7, v10, v6
	v_sub_f32_e32 v1, v1, v11
	v_cvt_i32_f32_e32 v11, v11
	v_div_fmas_f32 v6, v6, v8, v10
	v_mul_f32_e64 v10, 0x4f800000, |v2|
	v_cmp_gt_f32_e64 vcc_lo, 0xf800000, |v2|
	v_add_f32_e32 v1, v1, v12
	v_div_fixup_f32 v6, v6, |v2|, 0x42000000
	v_cndmask_b32_e64 v10, |v2|, v10, vcc_lo
	v_exp_f32_e32 v1, v1
	v_add_f32_e32 v6, -2.0, v6
	v_sqrt_f32_e32 v13, v10
	v_fmaak_f32 v7, s4, v6, 0xa2b236d3
	v_ldexp_f32 v1, v1, v11
	v_fmaak_f32 v8, v6, v7, 0x23056dbb
	v_add_nc_u32_e32 v12, -1, v13
	v_add_nc_u32_e32 v14, 1, v13
	v_add_f32_e32 v8, 0x244df0c1, v8
	v_fma_f32 v15, -v12, v13, v10
	v_fma_f32 v16, -v14, v13, v10
	v_fma_f32 v7, v6, v8, -v7
	v_cmp_ge_f32_e64 s4, 0, v15
	v_add_f32_e32 v7, 0x241f9ee8, v7
	v_cndmask_b32_e64 v12, v13, v12, s4
	v_cmp_lt_f32_e64 s4, 0, v16
	v_fma_f32 v8, v6, v7, -v8
	v_add_f32_e32 v8, 0xa5a3005d, v8
	v_fma_f32 v7, v6, v8, -v7
	v_add_f32_e32 v7, 0xa5c5773f, v7
	v_fma_f32 v8, v6, v7, -v8
	v_add_f32_e32 v8, 0x26ff73ed, v8
	v_fma_f32 v7, v6, v8, -v7
	v_add_f32_e32 v7, 0x2789548d, v7
	v_fma_f32 v8, v6, v7, -v8
	v_add_f32_e32 v8, 0xa82c1ff4, v8
	v_fma_f32 v7, v6, v8, -v7
	v_add_f32_e32 v7, 0xa93aecce, v7
	v_fma_f32 v8, v6, v7, -v8
	v_add_f32_e32 v8, 0x288ab7f8, v8
	v_fma_f32 v7, v6, v8, -v7
	v_add_f32_e32 v7, 0x2ad8e463, v7
	v_fma_f32 v8, v6, v7, -v8
	v_add_f32_e32 v8, 0x2b4a1a40, v8
	v_fma_f32 v7, v6, v8, -v7
	v_add_f32_e32 v7, 0xabfc8218, v7
	v_fma_f32 v8, v6, v7, -v8
	v_add_f32_e32 v8, 0xad687eba, v8
	v_fma_f32 v7, v6, v8, -v7
	v_add_f32_e32 v7, 0xae0a88e8, v7
	v_fma_f32 v8, v6, v7, -v8
	v_add_f32_e32 v8, 0x2d5127f5, v8
	v_fma_f32 v7, v6, v8, -v7
	v_add_f32_e32 v7, 0x3007ce66, v7
	v_fma_f32 v8, v6, v7, -v8
	v_add_f32_e32 v8, 0x31696325, v8
	v_fma_f32 v7, v6, v8, -v7
	v_add_f32_e32 v7, 0x32c2b494, v7
	v_fma_f32 v8, v6, v7, -v8
	v_add_f32_e32 v8, 0x345c003f, v8
	v_fma_f32 v7, v6, v8, -v7
	v_add_f32_e32 v7, 0x3642095e, v7
	v_fma_f32 v8, v6, v7, -v8
	v_add_f32_e32 v8, 0x38907d1c, v8
	v_fma_f32 v7, v6, v8, -v7
	v_add_f32_e32 v7, 0x3b5ccc65, v7
	v_fma_f32 v6, v6, v7, -v8
	v_cndmask_b32_e64 v7, v12, v14, s4
	v_cmp_ngt_f32_e64 s4, 0xc2ce8ed0, |v2|
	v_add_f32_e32 v6, 0x3f4df315, v6
	v_mul_f32_e32 v11, 0x37800000, v7
	v_cndmask_b32_e64 v1, 0, v1, s4
	v_cmp_nlt_f32_e64 s4, 0x42b17218, |v2|
	v_sub_f32_e32 v6, v6, v8
	v_cndmask_b32_e32 v2, v7, v11, vcc_lo
	v_cmp_class_f32_e64 vcc_lo, v10, 0x260
	v_cndmask_b32_e64 v1, 0x7f800000, v1, s4
	v_mul_f32_e32 v6, 0.5, v6
	v_cndmask_b32_e32 v2, v2, v10, vcc_lo
	v_mul_f32_e32 v1, v1, v6
	v_div_scale_f32 v6, null, v2, v2, v1
	v_rcp_f32_e32 v7, v6
	v_fma_f32 v8, -v6, v7, 1.0
	v_fmac_f32_e32 v7, v8, v7
	v_div_scale_f32 v8, vcc_lo, v1, v2, v1
	v_mul_f32_e32 v10, v8, v7
	v_fma_f32 v11, -v6, v10, v8
	v_fmac_f32_e32 v10, v11, v7
	v_fma_f32 v6, -v6, v10, v8
	v_div_fmas_f32 v6, v6, v7, v10
	v_div_fixup_f32 v6, v6, v2, v1
.LBB12_11:
	s_or_b32 exec_lo, exec_lo, s5
	v_cmp_ge_f32_e64 s4, 0x41000000, |v3|
	v_mul_f32_e64 v1, 0x3fb8aa3b, |v3|
	s_and_saveexec_b32 s5, s4
	s_xor_b32 s4, exec_lo, s5
	s_cbranch_execz .LBB12_13
; %bb.12:
	v_fma_f32 v2, |v3|, 0.5, -2.0
	s_mov_b32 s5, 0xa2a2e5b9
	v_rndne_f32_e32 v10, v1
	v_fma_f32 v11, 0x3fb8aa3b, |v3|, -v1
	v_cmp_ngt_f32_e64 vcc_lo, 0xc2ce8ed0, |v3|
	v_fmaak_f32 v7, s5, v2, 0x24199b15
	v_sub_f32_e32 v1, v1, v10
	v_fma_f32 v11, 0x32a5705f, |v3|, v11
	v_cvt_i32_f32_e32 v10, v10
	v_fmaak_f32 v8, v2, v7, 0x22a2e5b9
	v_add_f32_e32 v1, v1, v11
	v_add_f32_e32 v8, 0xa58c275c, v8
	v_exp_f32_e32 v1, v1
	v_fma_f32 v7, v2, v8, -v7
	v_add_f32_e32 v7, 0x26f736c5, v7
	v_ldexp_f32 v1, v1, v10
	v_fma_f32 v8, v2, v7, -v8
	v_cndmask_b32_e32 v1, 0, v1, vcc_lo
	v_cmp_nlt_f32_e64 vcc_lo, 0x42b17218, |v3|
	v_add_f32_e32 v8, 0xa8528116, v8
	v_cndmask_b32_e32 v1, 0x7f800000, v1, vcc_lo
	v_fma_f32 v7, v2, v8, -v7
	v_add_f32_e32 v7, 0x29acda32, v7
	v_fma_f32 v8, v2, v7, -v8
	v_add_f32_e32 v8, 0xab08b263, v8
	v_fma_f32 v7, v2, v8, -v7
	v_add_f32_e32 v7, 0x2c4ff17f, v7
	v_fma_f32 v8, v2, v7, -v8
	v_add_f32_e32 v8, 0xad97e4ac, v8
	v_fma_f32 v7, v2, v8, -v7
	v_add_f32_e32 v7, 0x2ed4c5f6, v7
	v_fma_f32 v8, v2, v7, -v8
	v_add_f32_e32 v8, 0xb00ea7f1, v8
	v_fma_f32 v7, v2, v8, -v7
	v_add_f32_e32 v7, 0x3136c81d, v7
	v_fma_f32 v8, v2, v7, -v8
	v_add_f32_e32 v8, 0xb25f57b4, v8
	v_fma_f32 v7, v2, v8, -v7
	v_add_f32_e32 v7, 0x3381dbb5, v7
	v_fma_f32 v8, v2, v7, -v8
	v_add_f32_e32 v8, 0xb48f631c, v8
	v_fma_f32 v7, v2, v8, -v7
	v_add_f32_e32 v7, 0x3595f925, v7
	v_fma_f32 v8, v2, v7, -v8
	v_add_f32_e32 v8, 0xb694337e, v8
	v_fma_f32 v7, v2, v8, -v7
	v_add_f32_e32 v7, 0x3789fac6, v7
	v_fma_f32 v8, v2, v7, -v8
	v_add_f32_e32 v8, 0xb8715933, v8
	v_fma_f32 v7, v2, v8, -v7
	v_add_f32_e32 v7, 0x3945a8dc, v7
	v_fma_f32 v8, v2, v7, -v8
	v_add_f32_e32 v8, 0xba1717e9, v8
	v_fma_f32 v7, v2, v8, -v7
	v_add_f32_e32 v7, 0x3ad6e3ac, v7
	v_fma_f32 v8, v2, v7, -v8
	v_add_f32_e32 v8, 0xbb8db2f1, v8
	v_fma_f32 v7, v2, v8, -v7
	v_add_f32_e32 v7, 0x3c2ccb10, v7
	v_fma_f32 v8, v2, v7, -v8
	v_add_f32_e32 v8, 0xbcc274f8, v8
	v_fma_f32 v7, v2, v8, -v7
	v_add_f32_e32 v7, 0x3d49f456, v7
	v_fma_f32 v8, v2, v7, -v8
	v_add_f32_e32 v8, 0xbdc25b82, v8
	v_fma_f32 v7, v2, v8, -v7
	v_add_f32_e32 v7, 0x3e2fbd64, v7
	v_fma_f32 v8, v2, v7, -v8
	v_add_f32_e32 v8, 0xbe9bff5e, v8
	v_fma_f32 v2, v2, v8, -v7
	v_add_f32_e32 v2, 0x3f2d4275, v2
	v_sub_f32_e32 v2, v2, v7
	v_mul_f32_e32 v2, 0.5, v2
	v_mul_f32_e32 v7, v1, v2
                                        ; implicit-def: $vgpr1
.LBB12_13:
	s_andn2_saveexec_b32 s5, s4
	s_cbranch_execz .LBB12_15
; %bb.14:
	v_and_b32_e32 v2, 0x7fffffff, v3
	s_mov_b32 s4, 0xa3056dbb
	v_fma_f32 v12, 0x3fb8aa3b, |v3|, -v1
	v_div_scale_f32 v7, null, v2, v2, 0x42000000
	v_div_scale_f32 v2, vcc_lo, 0x42000000, v2, 0x42000000
	v_fma_f32 v12, 0x32a5705f, |v3|, v12
	v_rcp_f32_e32 v8, v7
	v_fma_f32 v10, -v7, v8, 1.0
	v_fmac_f32_e32 v8, v10, v8
	v_mul_f32_e32 v10, v2, v8
	v_fma_f32 v11, -v7, v10, v2
	v_fmac_f32_e32 v10, v11, v8
	v_rndne_f32_e32 v11, v1
	v_fma_f32 v2, -v7, v10, v2
	v_sub_f32_e32 v1, v1, v11
	v_cvt_i32_f32_e32 v11, v11
	v_div_fmas_f32 v2, v2, v8, v10
	v_mul_f32_e64 v10, 0x4f800000, |v3|
	v_cmp_gt_f32_e64 vcc_lo, 0xf800000, |v3|
	v_add_f32_e32 v1, v1, v12
	v_div_fixup_f32 v2, v2, |v3|, 0x42000000
	v_cndmask_b32_e64 v10, |v3|, v10, vcc_lo
	v_exp_f32_e32 v1, v1
	v_add_f32_e32 v2, -2.0, v2
	v_sqrt_f32_e32 v13, v10
	v_fmaak_f32 v7, s4, v2, 0xa2b236d3
	v_ldexp_f32 v1, v1, v11
	v_fmaak_f32 v8, v2, v7, 0x23056dbb
	v_add_nc_u32_e32 v12, -1, v13
	v_add_nc_u32_e32 v14, 1, v13
	v_add_f32_e32 v8, 0x244df0c1, v8
	v_fma_f32 v15, -v12, v13, v10
	v_fma_f32 v16, -v14, v13, v10
	v_fma_f32 v7, v2, v8, -v7
	v_cmp_ge_f32_e64 s4, 0, v15
	v_add_f32_e32 v7, 0x241f9ee8, v7
	v_cndmask_b32_e64 v12, v13, v12, s4
	v_cmp_lt_f32_e64 s4, 0, v16
	v_fma_f32 v8, v2, v7, -v8
	v_add_f32_e32 v8, 0xa5a3005d, v8
	v_fma_f32 v7, v2, v8, -v7
	v_add_f32_e32 v7, 0xa5c5773f, v7
	;; [unrolled: 2-line block ×20, first 2 shown]
	v_fma_f32 v2, v2, v7, -v8
	v_cndmask_b32_e64 v7, v12, v14, s4
	v_cmp_ngt_f32_e64 s4, 0xc2ce8ed0, |v3|
	v_add_f32_e32 v2, 0x3f4df315, v2
	v_mul_f32_e32 v11, 0x37800000, v7
	v_cndmask_b32_e64 v1, 0, v1, s4
	v_cmp_nlt_f32_e64 s4, 0x42b17218, |v3|
	v_sub_f32_e32 v2, v2, v8
	v_cndmask_b32_e32 v3, v7, v11, vcc_lo
	v_cmp_class_f32_e64 vcc_lo, v10, 0x260
	v_cndmask_b32_e64 v1, 0x7f800000, v1, s4
	v_mul_f32_e32 v2, 0.5, v2
	v_cndmask_b32_e32 v3, v3, v10, vcc_lo
	v_mul_f32_e32 v1, v1, v2
	v_div_scale_f32 v2, null, v3, v3, v1
	v_rcp_f32_e32 v7, v2
	v_fma_f32 v8, -v2, v7, 1.0
	v_fmac_f32_e32 v7, v8, v7
	v_div_scale_f32 v8, vcc_lo, v1, v3, v1
	v_mul_f32_e32 v10, v8, v7
	v_fma_f32 v11, -v2, v10, v8
	v_fmac_f32_e32 v10, v11, v7
	v_fma_f32 v2, -v2, v10, v8
	v_div_fmas_f32 v2, v2, v7, v10
	v_div_fixup_f32 v7, v2, v3, v1
.LBB12_15:
	s_or_b32 exec_lo, exec_lo, s5
	v_cmp_ge_f32_e64 s4, 0x41000000, |v4|
	v_mul_f32_e64 v1, 0x3fb8aa3b, |v4|
	s_and_saveexec_b32 s5, s4
	s_xor_b32 s4, exec_lo, s5
	s_cbranch_execz .LBB12_17
; %bb.16:
	v_fma_f32 v2, |v4|, 0.5, -2.0
	s_mov_b32 s5, 0xa2a2e5b9
	v_rndne_f32_e32 v10, v1
	v_fma_f32 v11, 0x3fb8aa3b, |v4|, -v1
	v_cmp_ngt_f32_e64 vcc_lo, 0xc2ce8ed0, |v4|
	v_fmaak_f32 v3, s5, v2, 0x24199b15
	v_sub_f32_e32 v1, v1, v10
	v_fma_f32 v11, 0x32a5705f, |v4|, v11
	v_cvt_i32_f32_e32 v10, v10
	v_fmaak_f32 v8, v2, v3, 0x22a2e5b9
	v_add_f32_e32 v1, v1, v11
	v_add_f32_e32 v8, 0xa58c275c, v8
	v_exp_f32_e32 v1, v1
	v_fma_f32 v3, v2, v8, -v3
	v_add_f32_e32 v3, 0x26f736c5, v3
	v_ldexp_f32 v1, v1, v10
	v_fma_f32 v8, v2, v3, -v8
	v_cndmask_b32_e32 v1, 0, v1, vcc_lo
	v_cmp_nlt_f32_e64 vcc_lo, 0x42b17218, |v4|
	v_add_f32_e32 v8, 0xa8528116, v8
	v_cndmask_b32_e32 v1, 0x7f800000, v1, vcc_lo
	v_fma_f32 v3, v2, v8, -v3
	v_add_f32_e32 v3, 0x29acda32, v3
	v_fma_f32 v8, v2, v3, -v8
	v_add_f32_e32 v8, 0xab08b263, v8
	;; [unrolled: 2-line block ×25, first 2 shown]
	v_sub_f32_e32 v2, v2, v3
	v_mul_f32_e32 v2, 0.5, v2
	v_mul_f32_e32 v8, v1, v2
                                        ; implicit-def: $vgpr1_vgpr2_vgpr3_vgpr4
                                        ; implicit-def: $vgpr1
.LBB12_17:
	s_andn2_saveexec_b32 s5, s4
	s_cbranch_execz .LBB12_19
; %bb.18:
	v_and_b32_e32 v2, 0x7fffffff, v4
	s_mov_b32 s4, 0xa3056dbb
	v_fma_f32 v12, 0x3fb8aa3b, |v4|, -v1
	v_div_scale_f32 v3, null, v2, v2, 0x42000000
	v_div_scale_f32 v2, vcc_lo, 0x42000000, v2, 0x42000000
	v_fma_f32 v12, 0x32a5705f, |v4|, v12
	v_rcp_f32_e32 v8, v3
	v_fma_f32 v10, -v3, v8, 1.0
	v_fmac_f32_e32 v8, v10, v8
	v_mul_f32_e32 v10, v2, v8
	v_fma_f32 v11, -v3, v10, v2
	v_fmac_f32_e32 v10, v11, v8
	v_rndne_f32_e32 v11, v1
	v_fma_f32 v2, -v3, v10, v2
	v_sub_f32_e32 v1, v1, v11
	v_cvt_i32_f32_e32 v11, v11
	v_div_fmas_f32 v2, v2, v8, v10
	v_mul_f32_e64 v10, 0x4f800000, |v4|
	v_cmp_gt_f32_e64 vcc_lo, 0xf800000, |v4|
	v_add_f32_e32 v1, v1, v12
	v_div_fixup_f32 v2, v2, |v4|, 0x42000000
	v_cndmask_b32_e64 v10, |v4|, v10, vcc_lo
	v_exp_f32_e32 v1, v1
	v_add_f32_e32 v2, -2.0, v2
	v_sqrt_f32_e32 v13, v10
	v_fmaak_f32 v3, s4, v2, 0xa2b236d3
	v_ldexp_f32 v1, v1, v11
	v_fmaak_f32 v8, v2, v3, 0x23056dbb
	v_add_nc_u32_e32 v12, -1, v13
	v_add_nc_u32_e32 v14, 1, v13
	v_add_f32_e32 v8, 0x244df0c1, v8
	v_fma_f32 v15, -v12, v13, v10
	v_fma_f32 v16, -v14, v13, v10
	v_fma_f32 v3, v2, v8, -v3
	v_cmp_ge_f32_e64 s4, 0, v15
	v_add_f32_e32 v3, 0x241f9ee8, v3
	v_cndmask_b32_e64 v12, v13, v12, s4
	v_cmp_lt_f32_e64 s4, 0, v16
	v_fma_f32 v8, v2, v3, -v8
	v_add_f32_e32 v8, 0xa5a3005d, v8
	v_fma_f32 v3, v2, v8, -v3
	v_add_f32_e32 v3, 0xa5c5773f, v3
	;; [unrolled: 2-line block ×20, first 2 shown]
	v_fma_f32 v2, v2, v3, -v8
	v_cndmask_b32_e64 v3, v12, v14, s4
	v_cmp_ngt_f32_e64 s4, 0xc2ce8ed0, |v4|
	v_add_f32_e32 v2, 0x3f4df315, v2
	v_mul_f32_e32 v11, 0x37800000, v3
	v_cndmask_b32_e64 v1, 0, v1, s4
	v_cmp_nlt_f32_e64 s4, 0x42b17218, |v4|
	v_sub_f32_e32 v2, v2, v8
	v_cndmask_b32_e32 v3, v3, v11, vcc_lo
	v_cmp_class_f32_e64 vcc_lo, v10, 0x260
	v_cndmask_b32_e64 v1, 0x7f800000, v1, s4
	v_mul_f32_e32 v2, 0.5, v2
	v_cndmask_b32_e32 v3, v3, v10, vcc_lo
	v_mul_f32_e32 v1, v1, v2
	v_div_scale_f32 v2, null, v3, v3, v1
	v_rcp_f32_e32 v4, v2
	v_fma_f32 v8, -v2, v4, 1.0
	v_fmac_f32_e32 v4, v8, v4
	v_div_scale_f32 v8, vcc_lo, v1, v3, v1
	v_mul_f32_e32 v10, v8, v4
	v_fma_f32 v11, -v2, v10, v8
	v_fmac_f32_e32 v10, v11, v4
	v_fma_f32 v2, -v2, v10, v8
	v_div_fmas_f32 v2, v2, v4, v10
	v_div_fixup_f32 v8, v2, v3, v1
.LBB12_19:
	s_or_b32 exec_lo, exec_lo, s5
	s_add_u32 s12, s8, s12
	s_addc_u32 s13, s9, s13
	global_store_dwordx4 v9, v[5:8], s[12:13]
	s_branch .LBB12_2
.LBB12_20:
	v_mov_b32_e32 v31, v0
	v_mov_b32_e32 v0, s8
	;; [unrolled: 1-line block ×6, first 2 shown]
	s_getpc_b64 s[4:5]
	s_add_u32 s4, s4, _ZN2at6native25elementwise_kernel_helperILb0EZZZNS0_12_GLOBAL__N_130modified_bessel_i0_kernel_cudaERNS_18TensorIteratorBaseEENKUlvE_clEvENKUlvE0_clEvEUlfE_NS0_6memory8policies11unroll_baseILi256ESt5arrayIPcLm2EE23TrivialOffsetCalculatorILi1EjESF_NS8_15LoadWithoutCastENS8_16StoreWithoutCastELi4ELi1EEEEEvT0_T1_@rel32@lo+4
	s_addc_u32 s5, s5, _ZN2at6native25elementwise_kernel_helperILb0EZZZNS0_12_GLOBAL__N_130modified_bessel_i0_kernel_cudaERNS_18TensorIteratorBaseEENKUlvE_clEvENKUlvE0_clEvEUlfE_NS0_6memory8policies11unroll_baseILi256ESt5arrayIPcLm2EE23TrivialOffsetCalculatorILi1EjESF_NS8_15LoadWithoutCastENS8_16StoreWithoutCastELi4ELi1EEEEEvT0_T1_@rel32@hi+12
	s_mov_b32 s12, s6
	s_swappc_b64 s[30:31], s[4:5]
	s_endpgm
	.section	.rodata,"a",@progbits
	.p2align	6, 0x0
	.amdhsa_kernel _ZN2at6native29vectorized_elementwise_kernelILi8EZZZNS0_12_GLOBAL__N_130modified_bessel_i0_kernel_cudaERNS_18TensorIteratorBaseEENKUlvE_clEvENKUlvE0_clEvEUlfE_St5arrayIPcLm2EEEEviT0_T1_
		.amdhsa_group_segment_fixed_size 0
		.amdhsa_private_segment_fixed_size 0
		.amdhsa_kernarg_size 24
		.amdhsa_user_sgpr_count 6
		.amdhsa_user_sgpr_private_segment_buffer 1
		.amdhsa_user_sgpr_dispatch_ptr 0
		.amdhsa_user_sgpr_queue_ptr 0
		.amdhsa_user_sgpr_kernarg_segment_ptr 1
		.amdhsa_user_sgpr_dispatch_id 0
		.amdhsa_user_sgpr_flat_scratch_init 0
		.amdhsa_user_sgpr_private_segment_size 0
		.amdhsa_wavefront_size32 1
		.amdhsa_uses_dynamic_stack 0
		.amdhsa_system_sgpr_private_segment_wavefront_offset 0
		.amdhsa_system_sgpr_workgroup_id_x 1
		.amdhsa_system_sgpr_workgroup_id_y 0
		.amdhsa_system_sgpr_workgroup_id_z 0
		.amdhsa_system_sgpr_workgroup_info 0
		.amdhsa_system_vgpr_workitem_id 0
		.amdhsa_next_free_vgpr 32
		.amdhsa_next_free_sgpr 33
		.amdhsa_reserve_vcc 1
		.amdhsa_reserve_flat_scratch 0
		.amdhsa_float_round_mode_32 0
		.amdhsa_float_round_mode_16_64 0
		.amdhsa_float_denorm_mode_32 3
		.amdhsa_float_denorm_mode_16_64 3
		.amdhsa_dx10_clamp 1
		.amdhsa_ieee_mode 1
		.amdhsa_fp16_overflow 0
		.amdhsa_workgroup_processor_mode 1
		.amdhsa_memory_ordered 1
		.amdhsa_forward_progress 1
		.amdhsa_shared_vgpr_count 0
		.amdhsa_exception_fp_ieee_invalid_op 0
		.amdhsa_exception_fp_denorm_src 0
		.amdhsa_exception_fp_ieee_div_zero 0
		.amdhsa_exception_fp_ieee_overflow 0
		.amdhsa_exception_fp_ieee_underflow 0
		.amdhsa_exception_fp_ieee_inexact 0
		.amdhsa_exception_int_div_zero 0
	.end_amdhsa_kernel
	.section	.text._ZN2at6native29vectorized_elementwise_kernelILi8EZZZNS0_12_GLOBAL__N_130modified_bessel_i0_kernel_cudaERNS_18TensorIteratorBaseEENKUlvE_clEvENKUlvE0_clEvEUlfE_St5arrayIPcLm2EEEEviT0_T1_,"axG",@progbits,_ZN2at6native29vectorized_elementwise_kernelILi8EZZZNS0_12_GLOBAL__N_130modified_bessel_i0_kernel_cudaERNS_18TensorIteratorBaseEENKUlvE_clEvENKUlvE0_clEvEUlfE_St5arrayIPcLm2EEEEviT0_T1_,comdat
.Lfunc_end12:
	.size	_ZN2at6native29vectorized_elementwise_kernelILi8EZZZNS0_12_GLOBAL__N_130modified_bessel_i0_kernel_cudaERNS_18TensorIteratorBaseEENKUlvE_clEvENKUlvE0_clEvEUlfE_St5arrayIPcLm2EEEEviT0_T1_, .Lfunc_end12-_ZN2at6native29vectorized_elementwise_kernelILi8EZZZNS0_12_GLOBAL__N_130modified_bessel_i0_kernel_cudaERNS_18TensorIteratorBaseEENKUlvE_clEvENKUlvE0_clEvEUlfE_St5arrayIPcLm2EEEEviT0_T1_
                                        ; -- End function
	.set _ZN2at6native29vectorized_elementwise_kernelILi8EZZZNS0_12_GLOBAL__N_130modified_bessel_i0_kernel_cudaERNS_18TensorIteratorBaseEENKUlvE_clEvENKUlvE0_clEvEUlfE_St5arrayIPcLm2EEEEviT0_T1_.num_vgpr, max(32, .L_ZN2at6native25elementwise_kernel_helperILb0EZZZNS0_12_GLOBAL__N_130modified_bessel_i0_kernel_cudaERNS_18TensorIteratorBaseEENKUlvE_clEvENKUlvE0_clEvEUlfE_NS0_6memory8policies11unroll_baseILi256ESt5arrayIPcLm2EE23TrivialOffsetCalculatorILi1EjESF_NS8_15LoadWithoutCastENS8_16StoreWithoutCastELi4ELi1EEEEEvT0_T1_.num_vgpr)
	.set _ZN2at6native29vectorized_elementwise_kernelILi8EZZZNS0_12_GLOBAL__N_130modified_bessel_i0_kernel_cudaERNS_18TensorIteratorBaseEENKUlvE_clEvENKUlvE0_clEvEUlfE_St5arrayIPcLm2EEEEviT0_T1_.num_agpr, max(0, .L_ZN2at6native25elementwise_kernel_helperILb0EZZZNS0_12_GLOBAL__N_130modified_bessel_i0_kernel_cudaERNS_18TensorIteratorBaseEENKUlvE_clEvENKUlvE0_clEvEUlfE_NS0_6memory8policies11unroll_baseILi256ESt5arrayIPcLm2EE23TrivialOffsetCalculatorILi1EjESF_NS8_15LoadWithoutCastENS8_16StoreWithoutCastELi4ELi1EEEEEvT0_T1_.num_agpr)
	.set _ZN2at6native29vectorized_elementwise_kernelILi8EZZZNS0_12_GLOBAL__N_130modified_bessel_i0_kernel_cudaERNS_18TensorIteratorBaseEENKUlvE_clEvENKUlvE0_clEvEUlfE_St5arrayIPcLm2EEEEviT0_T1_.numbered_sgpr, max(33, .L_ZN2at6native25elementwise_kernel_helperILb0EZZZNS0_12_GLOBAL__N_130modified_bessel_i0_kernel_cudaERNS_18TensorIteratorBaseEENKUlvE_clEvENKUlvE0_clEvEUlfE_NS0_6memory8policies11unroll_baseILi256ESt5arrayIPcLm2EE23TrivialOffsetCalculatorILi1EjESF_NS8_15LoadWithoutCastENS8_16StoreWithoutCastELi4ELi1EEEEEvT0_T1_.numbered_sgpr)
	.set _ZN2at6native29vectorized_elementwise_kernelILi8EZZZNS0_12_GLOBAL__N_130modified_bessel_i0_kernel_cudaERNS_18TensorIteratorBaseEENKUlvE_clEvENKUlvE0_clEvEUlfE_St5arrayIPcLm2EEEEviT0_T1_.num_named_barrier, max(0, .L_ZN2at6native25elementwise_kernel_helperILb0EZZZNS0_12_GLOBAL__N_130modified_bessel_i0_kernel_cudaERNS_18TensorIteratorBaseEENKUlvE_clEvENKUlvE0_clEvEUlfE_NS0_6memory8policies11unroll_baseILi256ESt5arrayIPcLm2EE23TrivialOffsetCalculatorILi1EjESF_NS8_15LoadWithoutCastENS8_16StoreWithoutCastELi4ELi1EEEEEvT0_T1_.num_named_barrier)
	.set _ZN2at6native29vectorized_elementwise_kernelILi8EZZZNS0_12_GLOBAL__N_130modified_bessel_i0_kernel_cudaERNS_18TensorIteratorBaseEENKUlvE_clEvENKUlvE0_clEvEUlfE_St5arrayIPcLm2EEEEviT0_T1_.private_seg_size, 0+max(.L_ZN2at6native25elementwise_kernel_helperILb0EZZZNS0_12_GLOBAL__N_130modified_bessel_i0_kernel_cudaERNS_18TensorIteratorBaseEENKUlvE_clEvENKUlvE0_clEvEUlfE_NS0_6memory8policies11unroll_baseILi256ESt5arrayIPcLm2EE23TrivialOffsetCalculatorILi1EjESF_NS8_15LoadWithoutCastENS8_16StoreWithoutCastELi4ELi1EEEEEvT0_T1_.private_seg_size)
	.set _ZN2at6native29vectorized_elementwise_kernelILi8EZZZNS0_12_GLOBAL__N_130modified_bessel_i0_kernel_cudaERNS_18TensorIteratorBaseEENKUlvE_clEvENKUlvE0_clEvEUlfE_St5arrayIPcLm2EEEEviT0_T1_.uses_vcc, or(1, .L_ZN2at6native25elementwise_kernel_helperILb0EZZZNS0_12_GLOBAL__N_130modified_bessel_i0_kernel_cudaERNS_18TensorIteratorBaseEENKUlvE_clEvENKUlvE0_clEvEUlfE_NS0_6memory8policies11unroll_baseILi256ESt5arrayIPcLm2EE23TrivialOffsetCalculatorILi1EjESF_NS8_15LoadWithoutCastENS8_16StoreWithoutCastELi4ELi1EEEEEvT0_T1_.uses_vcc)
	.set _ZN2at6native29vectorized_elementwise_kernelILi8EZZZNS0_12_GLOBAL__N_130modified_bessel_i0_kernel_cudaERNS_18TensorIteratorBaseEENKUlvE_clEvENKUlvE0_clEvEUlfE_St5arrayIPcLm2EEEEviT0_T1_.uses_flat_scratch, or(0, .L_ZN2at6native25elementwise_kernel_helperILb0EZZZNS0_12_GLOBAL__N_130modified_bessel_i0_kernel_cudaERNS_18TensorIteratorBaseEENKUlvE_clEvENKUlvE0_clEvEUlfE_NS0_6memory8policies11unroll_baseILi256ESt5arrayIPcLm2EE23TrivialOffsetCalculatorILi1EjESF_NS8_15LoadWithoutCastENS8_16StoreWithoutCastELi4ELi1EEEEEvT0_T1_.uses_flat_scratch)
	.set _ZN2at6native29vectorized_elementwise_kernelILi8EZZZNS0_12_GLOBAL__N_130modified_bessel_i0_kernel_cudaERNS_18TensorIteratorBaseEENKUlvE_clEvENKUlvE0_clEvEUlfE_St5arrayIPcLm2EEEEviT0_T1_.has_dyn_sized_stack, or(0, .L_ZN2at6native25elementwise_kernel_helperILb0EZZZNS0_12_GLOBAL__N_130modified_bessel_i0_kernel_cudaERNS_18TensorIteratorBaseEENKUlvE_clEvENKUlvE0_clEvEUlfE_NS0_6memory8policies11unroll_baseILi256ESt5arrayIPcLm2EE23TrivialOffsetCalculatorILi1EjESF_NS8_15LoadWithoutCastENS8_16StoreWithoutCastELi4ELi1EEEEEvT0_T1_.has_dyn_sized_stack)
	.set _ZN2at6native29vectorized_elementwise_kernelILi8EZZZNS0_12_GLOBAL__N_130modified_bessel_i0_kernel_cudaERNS_18TensorIteratorBaseEENKUlvE_clEvENKUlvE0_clEvEUlfE_St5arrayIPcLm2EEEEviT0_T1_.has_recursion, or(0, .L_ZN2at6native25elementwise_kernel_helperILb0EZZZNS0_12_GLOBAL__N_130modified_bessel_i0_kernel_cudaERNS_18TensorIteratorBaseEENKUlvE_clEvENKUlvE0_clEvEUlfE_NS0_6memory8policies11unroll_baseILi256ESt5arrayIPcLm2EE23TrivialOffsetCalculatorILi1EjESF_NS8_15LoadWithoutCastENS8_16StoreWithoutCastELi4ELi1EEEEEvT0_T1_.has_recursion)
	.set _ZN2at6native29vectorized_elementwise_kernelILi8EZZZNS0_12_GLOBAL__N_130modified_bessel_i0_kernel_cudaERNS_18TensorIteratorBaseEENKUlvE_clEvENKUlvE0_clEvEUlfE_St5arrayIPcLm2EEEEviT0_T1_.has_indirect_call, or(0, .L_ZN2at6native25elementwise_kernel_helperILb0EZZZNS0_12_GLOBAL__N_130modified_bessel_i0_kernel_cudaERNS_18TensorIteratorBaseEENKUlvE_clEvENKUlvE0_clEvEUlfE_NS0_6memory8policies11unroll_baseILi256ESt5arrayIPcLm2EE23TrivialOffsetCalculatorILi1EjESF_NS8_15LoadWithoutCastENS8_16StoreWithoutCastELi4ELi1EEEEEvT0_T1_.has_indirect_call)
	.section	.AMDGPU.csdata,"",@progbits
; Kernel info:
; codeLenInByte = 5776
; TotalNumSgprs: 35
; NumVgprs: 32
; ScratchSize: 0
; MemoryBound: 0
; FloatMode: 240
; IeeeMode: 1
; LDSByteSize: 0 bytes/workgroup (compile time only)
; SGPRBlocks: 0
; VGPRBlocks: 3
; NumSGPRsForWavesPerEU: 35
; NumVGPRsForWavesPerEU: 32
; Occupancy: 16
; WaveLimiterHint : 0
; COMPUTE_PGM_RSRC2:SCRATCH_EN: 0
; COMPUTE_PGM_RSRC2:USER_SGPR: 6
; COMPUTE_PGM_RSRC2:TRAP_HANDLER: 0
; COMPUTE_PGM_RSRC2:TGID_X_EN: 1
; COMPUTE_PGM_RSRC2:TGID_Y_EN: 0
; COMPUTE_PGM_RSRC2:TGID_Z_EN: 0
; COMPUTE_PGM_RSRC2:TIDIG_COMP_CNT: 0
	.section	.text._ZN2at6native29vectorized_elementwise_kernelILi4EZZZNS0_12_GLOBAL__N_130modified_bessel_i0_kernel_cudaERNS_18TensorIteratorBaseEENKUlvE_clEvENKUlvE0_clEvEUlfE_St5arrayIPcLm2EEEEviT0_T1_,"axG",@progbits,_ZN2at6native29vectorized_elementwise_kernelILi4EZZZNS0_12_GLOBAL__N_130modified_bessel_i0_kernel_cudaERNS_18TensorIteratorBaseEENKUlvE_clEvENKUlvE0_clEvEUlfE_St5arrayIPcLm2EEEEviT0_T1_,comdat
	.globl	_ZN2at6native29vectorized_elementwise_kernelILi4EZZZNS0_12_GLOBAL__N_130modified_bessel_i0_kernel_cudaERNS_18TensorIteratorBaseEENKUlvE_clEvENKUlvE0_clEvEUlfE_St5arrayIPcLm2EEEEviT0_T1_ ; -- Begin function _ZN2at6native29vectorized_elementwise_kernelILi4EZZZNS0_12_GLOBAL__N_130modified_bessel_i0_kernel_cudaERNS_18TensorIteratorBaseEENKUlvE_clEvENKUlvE0_clEvEUlfE_St5arrayIPcLm2EEEEviT0_T1_
	.p2align	8
	.type	_ZN2at6native29vectorized_elementwise_kernelILi4EZZZNS0_12_GLOBAL__N_130modified_bessel_i0_kernel_cudaERNS_18TensorIteratorBaseEENKUlvE_clEvENKUlvE0_clEvEUlfE_St5arrayIPcLm2EEEEviT0_T1_,@function
_ZN2at6native29vectorized_elementwise_kernelILi4EZZZNS0_12_GLOBAL__N_130modified_bessel_i0_kernel_cudaERNS_18TensorIteratorBaseEENKUlvE_clEvENKUlvE0_clEvEUlfE_St5arrayIPcLm2EEEEviT0_T1_: ; @_ZN2at6native29vectorized_elementwise_kernelILi4EZZZNS0_12_GLOBAL__N_130modified_bessel_i0_kernel_cudaERNS_18TensorIteratorBaseEENKUlvE_clEvENKUlvE0_clEvEUlfE_St5arrayIPcLm2EEEEviT0_T1_
; %bb.0:
	s_add_u32 s0, s0, s7
	s_clause 0x1
	s_load_dword s7, s[4:5], 0x0
	s_load_dwordx4 s[8:11], s[4:5], 0x8
	s_addc_u32 s1, s1, 0
	s_lshl_b32 s4, s6, 10
	s_mov_b32 s5, -1
	s_mov_b32 s32, 0
	s_waitcnt lgkmcnt(0)
	s_sub_i32 s7, s7, s4
	s_cmpk_gt_i32 s7, 0x3ff
	s_cbranch_scc1 .LBB13_3
; %bb.1:
	s_and_b32 vcc_lo, exec_lo, s5
	s_cbranch_vccnz .LBB13_20
.LBB13_2:
	s_endpgm
.LBB13_3:
	s_ashr_i32 s5, s4, 31
	v_lshlrev_b32_e32 v9, 4, v0
	s_lshl_b64 s[12:13], s[4:5], 2
                                        ; implicit-def: $vgpr5
	s_add_u32 s4, s10, s12
	s_addc_u32 s5, s11, s13
	global_load_dwordx4 v[1:4], v9, s[4:5]
	s_waitcnt vmcnt(0)
	v_cmp_ge_f32_e64 s4, 0x41000000, |v1|
	v_mul_f32_e64 v6, 0x3fb8aa3b, |v1|
	s_and_saveexec_b32 s5, s4
	s_xor_b32 s4, exec_lo, s5
	s_cbranch_execz .LBB13_5
; %bb.4:
	v_fma_f32 v5, |v1|, 0.5, -2.0
	s_mov_b32 s5, 0xa2a2e5b9
	v_rndne_f32_e32 v10, v6
	v_fma_f32 v11, 0x3fb8aa3b, |v1|, -v6
	v_cmp_ngt_f32_e64 vcc_lo, 0xc2ce8ed0, |v1|
	v_fmaak_f32 v7, s5, v5, 0x24199b15
	v_sub_f32_e32 v6, v6, v10
	v_fma_f32 v11, 0x32a5705f, |v1|, v11
	v_cvt_i32_f32_e32 v10, v10
	v_fmaak_f32 v8, v5, v7, 0x22a2e5b9
	v_add_f32_e32 v6, v6, v11
	v_add_f32_e32 v8, 0xa58c275c, v8
	v_exp_f32_e32 v6, v6
	v_fma_f32 v7, v5, v8, -v7
	v_add_f32_e32 v7, 0x26f736c5, v7
	v_ldexp_f32 v6, v6, v10
	v_fma_f32 v8, v5, v7, -v8
	v_cndmask_b32_e32 v6, 0, v6, vcc_lo
	v_cmp_nlt_f32_e64 vcc_lo, 0x42b17218, |v1|
	v_add_f32_e32 v8, 0xa8528116, v8
	v_cndmask_b32_e32 v6, 0x7f800000, v6, vcc_lo
	v_fma_f32 v7, v5, v8, -v7
	v_add_f32_e32 v7, 0x29acda32, v7
	v_fma_f32 v8, v5, v7, -v8
	v_add_f32_e32 v8, 0xab08b263, v8
	;; [unrolled: 2-line block ×25, first 2 shown]
	v_sub_f32_e32 v5, v5, v7
	v_mul_f32_e32 v5, 0.5, v5
	v_mul_f32_e32 v5, v6, v5
                                        ; implicit-def: $vgpr6
.LBB13_5:
	s_andn2_saveexec_b32 s5, s4
	s_cbranch_execz .LBB13_7
; %bb.6:
	v_and_b32_e32 v5, 0x7fffffff, v1
	s_mov_b32 s4, 0xa3056dbb
	v_fma_f32 v12, 0x3fb8aa3b, |v1|, -v6
	v_div_scale_f32 v7, null, v5, v5, 0x42000000
	v_div_scale_f32 v5, vcc_lo, 0x42000000, v5, 0x42000000
	v_fma_f32 v12, 0x32a5705f, |v1|, v12
	v_rcp_f32_e32 v8, v7
	v_fma_f32 v10, -v7, v8, 1.0
	v_fmac_f32_e32 v8, v10, v8
	v_mul_f32_e32 v10, v5, v8
	v_fma_f32 v11, -v7, v10, v5
	v_fmac_f32_e32 v10, v11, v8
	v_rndne_f32_e32 v11, v6
	v_fma_f32 v5, -v7, v10, v5
	v_sub_f32_e32 v6, v6, v11
	v_cvt_i32_f32_e32 v11, v11
	v_div_fmas_f32 v5, v5, v8, v10
	v_mul_f32_e64 v10, 0x4f800000, |v1|
	v_cmp_gt_f32_e64 vcc_lo, 0xf800000, |v1|
	v_add_f32_e32 v6, v6, v12
	v_div_fixup_f32 v5, v5, |v1|, 0x42000000
	v_cndmask_b32_e64 v10, |v1|, v10, vcc_lo
	v_exp_f32_e32 v6, v6
	v_add_f32_e32 v5, -2.0, v5
	v_sqrt_f32_e32 v13, v10
	v_fmaak_f32 v7, s4, v5, 0xa2b236d3
	v_ldexp_f32 v6, v6, v11
	v_fmaak_f32 v8, v5, v7, 0x23056dbb
	v_add_nc_u32_e32 v12, -1, v13
	v_add_nc_u32_e32 v14, 1, v13
	v_add_f32_e32 v8, 0x244df0c1, v8
	v_fma_f32 v15, -v12, v13, v10
	v_fma_f32 v16, -v14, v13, v10
	v_fma_f32 v7, v5, v8, -v7
	v_cmp_ge_f32_e64 s4, 0, v15
	v_add_f32_e32 v7, 0x241f9ee8, v7
	v_cndmask_b32_e64 v12, v13, v12, s4
	v_cmp_lt_f32_e64 s4, 0, v16
	v_fma_f32 v8, v5, v7, -v8
	v_add_f32_e32 v8, 0xa5a3005d, v8
	v_fma_f32 v7, v5, v8, -v7
	v_add_f32_e32 v7, 0xa5c5773f, v7
	;; [unrolled: 2-line block ×20, first 2 shown]
	v_fma_f32 v5, v5, v7, -v8
	v_cndmask_b32_e64 v7, v12, v14, s4
	v_cmp_ngt_f32_e64 s4, 0xc2ce8ed0, |v1|
	v_add_f32_e32 v5, 0x3f4df315, v5
	v_mul_f32_e32 v11, 0x37800000, v7
	v_cndmask_b32_e64 v6, 0, v6, s4
	v_cmp_nlt_f32_e64 s4, 0x42b17218, |v1|
	v_sub_f32_e32 v5, v5, v8
	v_cndmask_b32_e64 v1, 0x7f800000, v6, s4
	v_cndmask_b32_e32 v6, v7, v11, vcc_lo
	v_mul_f32_e32 v5, 0.5, v5
	v_cmp_class_f32_e64 vcc_lo, v10, 0x260
	v_mul_f32_e32 v1, v1, v5
	v_cndmask_b32_e32 v6, v6, v10, vcc_lo
	v_div_scale_f32 v5, null, v6, v6, v1
	v_rcp_f32_e32 v7, v5
	v_fma_f32 v8, -v5, v7, 1.0
	v_fmac_f32_e32 v7, v8, v7
	v_div_scale_f32 v8, vcc_lo, v1, v6, v1
	v_mul_f32_e32 v10, v8, v7
	v_fma_f32 v11, -v5, v10, v8
	v_fmac_f32_e32 v10, v11, v7
	v_fma_f32 v5, -v5, v10, v8
	v_div_fmas_f32 v5, v5, v7, v10
	v_div_fixup_f32 v5, v5, v6, v1
.LBB13_7:
	s_or_b32 exec_lo, exec_lo, s5
	v_cmp_ge_f32_e64 s4, 0x41000000, |v2|
	v_mul_f32_e64 v1, 0x3fb8aa3b, |v2|
	s_and_saveexec_b32 s5, s4
	s_xor_b32 s4, exec_lo, s5
	s_cbranch_execz .LBB13_9
; %bb.8:
	v_fma_f32 v6, |v2|, 0.5, -2.0
	s_mov_b32 s5, 0xa2a2e5b9
	v_rndne_f32_e32 v10, v1
	v_fma_f32 v11, 0x3fb8aa3b, |v2|, -v1
	v_cmp_ngt_f32_e64 vcc_lo, 0xc2ce8ed0, |v2|
	v_fmaak_f32 v7, s5, v6, 0x24199b15
	v_sub_f32_e32 v1, v1, v10
	v_fma_f32 v11, 0x32a5705f, |v2|, v11
	v_cvt_i32_f32_e32 v10, v10
	v_fmaak_f32 v8, v6, v7, 0x22a2e5b9
	v_add_f32_e32 v1, v1, v11
	v_add_f32_e32 v8, 0xa58c275c, v8
	v_exp_f32_e32 v1, v1
	v_fma_f32 v7, v6, v8, -v7
	v_add_f32_e32 v7, 0x26f736c5, v7
	v_ldexp_f32 v1, v1, v10
	v_fma_f32 v8, v6, v7, -v8
	v_cndmask_b32_e32 v1, 0, v1, vcc_lo
	v_cmp_nlt_f32_e64 vcc_lo, 0x42b17218, |v2|
	v_add_f32_e32 v8, 0xa8528116, v8
	v_cndmask_b32_e32 v1, 0x7f800000, v1, vcc_lo
	v_fma_f32 v7, v6, v8, -v7
	v_add_f32_e32 v7, 0x29acda32, v7
	v_fma_f32 v8, v6, v7, -v8
	v_add_f32_e32 v8, 0xab08b263, v8
	;; [unrolled: 2-line block ×25, first 2 shown]
	v_sub_f32_e32 v6, v6, v7
	v_mul_f32_e32 v6, 0.5, v6
	v_mul_f32_e32 v6, v1, v6
                                        ; implicit-def: $vgpr1
.LBB13_9:
	s_andn2_saveexec_b32 s5, s4
	s_cbranch_execz .LBB13_11
; %bb.10:
	v_and_b32_e32 v6, 0x7fffffff, v2
	s_mov_b32 s4, 0xa3056dbb
	v_fma_f32 v12, 0x3fb8aa3b, |v2|, -v1
	v_div_scale_f32 v7, null, v6, v6, 0x42000000
	v_div_scale_f32 v6, vcc_lo, 0x42000000, v6, 0x42000000
	v_fma_f32 v12, 0x32a5705f, |v2|, v12
	v_rcp_f32_e32 v8, v7
	v_fma_f32 v10, -v7, v8, 1.0
	v_fmac_f32_e32 v8, v10, v8
	v_mul_f32_e32 v10, v6, v8
	v_fma_f32 v11, -v7, v10, v6
	v_fmac_f32_e32 v10, v11, v8
	v_rndne_f32_e32 v11, v1
	v_fma_f32 v6, -v7, v10, v6
	v_sub_f32_e32 v1, v1, v11
	v_cvt_i32_f32_e32 v11, v11
	v_div_fmas_f32 v6, v6, v8, v10
	v_mul_f32_e64 v10, 0x4f800000, |v2|
	v_cmp_gt_f32_e64 vcc_lo, 0xf800000, |v2|
	v_add_f32_e32 v1, v1, v12
	v_div_fixup_f32 v6, v6, |v2|, 0x42000000
	v_cndmask_b32_e64 v10, |v2|, v10, vcc_lo
	v_exp_f32_e32 v1, v1
	v_add_f32_e32 v6, -2.0, v6
	v_sqrt_f32_e32 v13, v10
	v_fmaak_f32 v7, s4, v6, 0xa2b236d3
	v_ldexp_f32 v1, v1, v11
	v_fmaak_f32 v8, v6, v7, 0x23056dbb
	v_add_nc_u32_e32 v12, -1, v13
	v_add_nc_u32_e32 v14, 1, v13
	v_add_f32_e32 v8, 0x244df0c1, v8
	v_fma_f32 v15, -v12, v13, v10
	v_fma_f32 v16, -v14, v13, v10
	v_fma_f32 v7, v6, v8, -v7
	v_cmp_ge_f32_e64 s4, 0, v15
	v_add_f32_e32 v7, 0x241f9ee8, v7
	v_cndmask_b32_e64 v12, v13, v12, s4
	v_cmp_lt_f32_e64 s4, 0, v16
	v_fma_f32 v8, v6, v7, -v8
	v_add_f32_e32 v8, 0xa5a3005d, v8
	v_fma_f32 v7, v6, v8, -v7
	v_add_f32_e32 v7, 0xa5c5773f, v7
	;; [unrolled: 2-line block ×20, first 2 shown]
	v_fma_f32 v6, v6, v7, -v8
	v_cndmask_b32_e64 v7, v12, v14, s4
	v_cmp_ngt_f32_e64 s4, 0xc2ce8ed0, |v2|
	v_add_f32_e32 v6, 0x3f4df315, v6
	v_mul_f32_e32 v11, 0x37800000, v7
	v_cndmask_b32_e64 v1, 0, v1, s4
	v_cmp_nlt_f32_e64 s4, 0x42b17218, |v2|
	v_sub_f32_e32 v6, v6, v8
	v_cndmask_b32_e32 v2, v7, v11, vcc_lo
	v_cmp_class_f32_e64 vcc_lo, v10, 0x260
	v_cndmask_b32_e64 v1, 0x7f800000, v1, s4
	v_mul_f32_e32 v6, 0.5, v6
	v_cndmask_b32_e32 v2, v2, v10, vcc_lo
	v_mul_f32_e32 v1, v1, v6
	v_div_scale_f32 v6, null, v2, v2, v1
	v_rcp_f32_e32 v7, v6
	v_fma_f32 v8, -v6, v7, 1.0
	v_fmac_f32_e32 v7, v8, v7
	v_div_scale_f32 v8, vcc_lo, v1, v2, v1
	v_mul_f32_e32 v10, v8, v7
	v_fma_f32 v11, -v6, v10, v8
	v_fmac_f32_e32 v10, v11, v7
	v_fma_f32 v6, -v6, v10, v8
	v_div_fmas_f32 v6, v6, v7, v10
	v_div_fixup_f32 v6, v6, v2, v1
.LBB13_11:
	s_or_b32 exec_lo, exec_lo, s5
	v_cmp_ge_f32_e64 s4, 0x41000000, |v3|
	v_mul_f32_e64 v1, 0x3fb8aa3b, |v3|
	s_and_saveexec_b32 s5, s4
	s_xor_b32 s4, exec_lo, s5
	s_cbranch_execz .LBB13_13
; %bb.12:
	v_fma_f32 v2, |v3|, 0.5, -2.0
	s_mov_b32 s5, 0xa2a2e5b9
	v_rndne_f32_e32 v10, v1
	v_fma_f32 v11, 0x3fb8aa3b, |v3|, -v1
	v_cmp_ngt_f32_e64 vcc_lo, 0xc2ce8ed0, |v3|
	v_fmaak_f32 v7, s5, v2, 0x24199b15
	v_sub_f32_e32 v1, v1, v10
	v_fma_f32 v11, 0x32a5705f, |v3|, v11
	v_cvt_i32_f32_e32 v10, v10
	v_fmaak_f32 v8, v2, v7, 0x22a2e5b9
	v_add_f32_e32 v1, v1, v11
	v_add_f32_e32 v8, 0xa58c275c, v8
	v_exp_f32_e32 v1, v1
	v_fma_f32 v7, v2, v8, -v7
	v_add_f32_e32 v7, 0x26f736c5, v7
	v_ldexp_f32 v1, v1, v10
	v_fma_f32 v8, v2, v7, -v8
	v_cndmask_b32_e32 v1, 0, v1, vcc_lo
	v_cmp_nlt_f32_e64 vcc_lo, 0x42b17218, |v3|
	v_add_f32_e32 v8, 0xa8528116, v8
	v_cndmask_b32_e32 v1, 0x7f800000, v1, vcc_lo
	v_fma_f32 v7, v2, v8, -v7
	v_add_f32_e32 v7, 0x29acda32, v7
	v_fma_f32 v8, v2, v7, -v8
	v_add_f32_e32 v8, 0xab08b263, v8
	;; [unrolled: 2-line block ×25, first 2 shown]
	v_sub_f32_e32 v2, v2, v7
	v_mul_f32_e32 v2, 0.5, v2
	v_mul_f32_e32 v7, v1, v2
                                        ; implicit-def: $vgpr1
.LBB13_13:
	s_andn2_saveexec_b32 s5, s4
	s_cbranch_execz .LBB13_15
; %bb.14:
	v_and_b32_e32 v2, 0x7fffffff, v3
	s_mov_b32 s4, 0xa3056dbb
	v_fma_f32 v12, 0x3fb8aa3b, |v3|, -v1
	v_div_scale_f32 v7, null, v2, v2, 0x42000000
	v_div_scale_f32 v2, vcc_lo, 0x42000000, v2, 0x42000000
	v_fma_f32 v12, 0x32a5705f, |v3|, v12
	v_rcp_f32_e32 v8, v7
	v_fma_f32 v10, -v7, v8, 1.0
	v_fmac_f32_e32 v8, v10, v8
	v_mul_f32_e32 v10, v2, v8
	v_fma_f32 v11, -v7, v10, v2
	v_fmac_f32_e32 v10, v11, v8
	v_rndne_f32_e32 v11, v1
	v_fma_f32 v2, -v7, v10, v2
	v_sub_f32_e32 v1, v1, v11
	v_cvt_i32_f32_e32 v11, v11
	v_div_fmas_f32 v2, v2, v8, v10
	v_mul_f32_e64 v10, 0x4f800000, |v3|
	v_cmp_gt_f32_e64 vcc_lo, 0xf800000, |v3|
	v_add_f32_e32 v1, v1, v12
	v_div_fixup_f32 v2, v2, |v3|, 0x42000000
	v_cndmask_b32_e64 v10, |v3|, v10, vcc_lo
	v_exp_f32_e32 v1, v1
	v_add_f32_e32 v2, -2.0, v2
	v_sqrt_f32_e32 v13, v10
	v_fmaak_f32 v7, s4, v2, 0xa2b236d3
	v_ldexp_f32 v1, v1, v11
	v_fmaak_f32 v8, v2, v7, 0x23056dbb
	v_add_nc_u32_e32 v12, -1, v13
	v_add_nc_u32_e32 v14, 1, v13
	v_add_f32_e32 v8, 0x244df0c1, v8
	v_fma_f32 v15, -v12, v13, v10
	v_fma_f32 v16, -v14, v13, v10
	v_fma_f32 v7, v2, v8, -v7
	v_cmp_ge_f32_e64 s4, 0, v15
	v_add_f32_e32 v7, 0x241f9ee8, v7
	v_cndmask_b32_e64 v12, v13, v12, s4
	v_cmp_lt_f32_e64 s4, 0, v16
	v_fma_f32 v8, v2, v7, -v8
	v_add_f32_e32 v8, 0xa5a3005d, v8
	v_fma_f32 v7, v2, v8, -v7
	v_add_f32_e32 v7, 0xa5c5773f, v7
	;; [unrolled: 2-line block ×20, first 2 shown]
	v_fma_f32 v2, v2, v7, -v8
	v_cndmask_b32_e64 v7, v12, v14, s4
	v_cmp_ngt_f32_e64 s4, 0xc2ce8ed0, |v3|
	v_add_f32_e32 v2, 0x3f4df315, v2
	v_mul_f32_e32 v11, 0x37800000, v7
	v_cndmask_b32_e64 v1, 0, v1, s4
	v_cmp_nlt_f32_e64 s4, 0x42b17218, |v3|
	v_sub_f32_e32 v2, v2, v8
	v_cndmask_b32_e32 v3, v7, v11, vcc_lo
	v_cmp_class_f32_e64 vcc_lo, v10, 0x260
	v_cndmask_b32_e64 v1, 0x7f800000, v1, s4
	v_mul_f32_e32 v2, 0.5, v2
	v_cndmask_b32_e32 v3, v3, v10, vcc_lo
	v_mul_f32_e32 v1, v1, v2
	v_div_scale_f32 v2, null, v3, v3, v1
	v_rcp_f32_e32 v7, v2
	v_fma_f32 v8, -v2, v7, 1.0
	v_fmac_f32_e32 v7, v8, v7
	v_div_scale_f32 v8, vcc_lo, v1, v3, v1
	v_mul_f32_e32 v10, v8, v7
	v_fma_f32 v11, -v2, v10, v8
	v_fmac_f32_e32 v10, v11, v7
	v_fma_f32 v2, -v2, v10, v8
	v_div_fmas_f32 v2, v2, v7, v10
	v_div_fixup_f32 v7, v2, v3, v1
.LBB13_15:
	s_or_b32 exec_lo, exec_lo, s5
	v_cmp_ge_f32_e64 s4, 0x41000000, |v4|
	v_mul_f32_e64 v1, 0x3fb8aa3b, |v4|
	s_and_saveexec_b32 s5, s4
	s_xor_b32 s4, exec_lo, s5
	s_cbranch_execz .LBB13_17
; %bb.16:
	v_fma_f32 v2, |v4|, 0.5, -2.0
	s_mov_b32 s5, 0xa2a2e5b9
	v_rndne_f32_e32 v10, v1
	v_fma_f32 v11, 0x3fb8aa3b, |v4|, -v1
	v_cmp_ngt_f32_e64 vcc_lo, 0xc2ce8ed0, |v4|
	v_fmaak_f32 v3, s5, v2, 0x24199b15
	v_sub_f32_e32 v1, v1, v10
	v_fma_f32 v11, 0x32a5705f, |v4|, v11
	v_cvt_i32_f32_e32 v10, v10
	v_fmaak_f32 v8, v2, v3, 0x22a2e5b9
	v_add_f32_e32 v1, v1, v11
	v_add_f32_e32 v8, 0xa58c275c, v8
	v_exp_f32_e32 v1, v1
	v_fma_f32 v3, v2, v8, -v3
	v_add_f32_e32 v3, 0x26f736c5, v3
	v_ldexp_f32 v1, v1, v10
	v_fma_f32 v8, v2, v3, -v8
	v_cndmask_b32_e32 v1, 0, v1, vcc_lo
	v_cmp_nlt_f32_e64 vcc_lo, 0x42b17218, |v4|
	v_add_f32_e32 v8, 0xa8528116, v8
	v_cndmask_b32_e32 v1, 0x7f800000, v1, vcc_lo
	v_fma_f32 v3, v2, v8, -v3
	v_add_f32_e32 v3, 0x29acda32, v3
	v_fma_f32 v8, v2, v3, -v8
	v_add_f32_e32 v8, 0xab08b263, v8
	;; [unrolled: 2-line block ×25, first 2 shown]
	v_sub_f32_e32 v2, v2, v3
	v_mul_f32_e32 v2, 0.5, v2
	v_mul_f32_e32 v8, v1, v2
                                        ; implicit-def: $vgpr1_vgpr2_vgpr3_vgpr4
                                        ; implicit-def: $vgpr1
.LBB13_17:
	s_andn2_saveexec_b32 s5, s4
	s_cbranch_execz .LBB13_19
; %bb.18:
	v_and_b32_e32 v2, 0x7fffffff, v4
	s_mov_b32 s4, 0xa3056dbb
	v_fma_f32 v12, 0x3fb8aa3b, |v4|, -v1
	v_div_scale_f32 v3, null, v2, v2, 0x42000000
	v_div_scale_f32 v2, vcc_lo, 0x42000000, v2, 0x42000000
	v_fma_f32 v12, 0x32a5705f, |v4|, v12
	v_rcp_f32_e32 v8, v3
	v_fma_f32 v10, -v3, v8, 1.0
	v_fmac_f32_e32 v8, v10, v8
	v_mul_f32_e32 v10, v2, v8
	v_fma_f32 v11, -v3, v10, v2
	v_fmac_f32_e32 v10, v11, v8
	v_rndne_f32_e32 v11, v1
	v_fma_f32 v2, -v3, v10, v2
	v_sub_f32_e32 v1, v1, v11
	v_cvt_i32_f32_e32 v11, v11
	v_div_fmas_f32 v2, v2, v8, v10
	v_mul_f32_e64 v10, 0x4f800000, |v4|
	v_cmp_gt_f32_e64 vcc_lo, 0xf800000, |v4|
	v_add_f32_e32 v1, v1, v12
	v_div_fixup_f32 v2, v2, |v4|, 0x42000000
	v_cndmask_b32_e64 v10, |v4|, v10, vcc_lo
	v_exp_f32_e32 v1, v1
	v_add_f32_e32 v2, -2.0, v2
	v_sqrt_f32_e32 v13, v10
	v_fmaak_f32 v3, s4, v2, 0xa2b236d3
	v_ldexp_f32 v1, v1, v11
	v_fmaak_f32 v8, v2, v3, 0x23056dbb
	v_add_nc_u32_e32 v12, -1, v13
	v_add_nc_u32_e32 v14, 1, v13
	v_add_f32_e32 v8, 0x244df0c1, v8
	v_fma_f32 v15, -v12, v13, v10
	v_fma_f32 v16, -v14, v13, v10
	v_fma_f32 v3, v2, v8, -v3
	v_cmp_ge_f32_e64 s4, 0, v15
	v_add_f32_e32 v3, 0x241f9ee8, v3
	v_cndmask_b32_e64 v12, v13, v12, s4
	v_cmp_lt_f32_e64 s4, 0, v16
	v_fma_f32 v8, v2, v3, -v8
	v_add_f32_e32 v8, 0xa5a3005d, v8
	v_fma_f32 v3, v2, v8, -v3
	v_add_f32_e32 v3, 0xa5c5773f, v3
	;; [unrolled: 2-line block ×20, first 2 shown]
	v_fma_f32 v2, v2, v3, -v8
	v_cndmask_b32_e64 v3, v12, v14, s4
	v_cmp_ngt_f32_e64 s4, 0xc2ce8ed0, |v4|
	v_add_f32_e32 v2, 0x3f4df315, v2
	v_mul_f32_e32 v11, 0x37800000, v3
	v_cndmask_b32_e64 v1, 0, v1, s4
	v_cmp_nlt_f32_e64 s4, 0x42b17218, |v4|
	v_sub_f32_e32 v2, v2, v8
	v_cndmask_b32_e32 v3, v3, v11, vcc_lo
	v_cmp_class_f32_e64 vcc_lo, v10, 0x260
	v_cndmask_b32_e64 v1, 0x7f800000, v1, s4
	v_mul_f32_e32 v2, 0.5, v2
	v_cndmask_b32_e32 v3, v3, v10, vcc_lo
	v_mul_f32_e32 v1, v1, v2
	v_div_scale_f32 v2, null, v3, v3, v1
	v_rcp_f32_e32 v4, v2
	v_fma_f32 v8, -v2, v4, 1.0
	v_fmac_f32_e32 v4, v8, v4
	v_div_scale_f32 v8, vcc_lo, v1, v3, v1
	v_mul_f32_e32 v10, v8, v4
	v_fma_f32 v11, -v2, v10, v8
	v_fmac_f32_e32 v10, v11, v4
	v_fma_f32 v2, -v2, v10, v8
	v_div_fmas_f32 v2, v2, v4, v10
	v_div_fixup_f32 v8, v2, v3, v1
.LBB13_19:
	s_or_b32 exec_lo, exec_lo, s5
	s_add_u32 s12, s8, s12
	s_addc_u32 s13, s9, s13
	global_store_dwordx4 v9, v[5:8], s[12:13]
	s_branch .LBB13_2
.LBB13_20:
	v_mov_b32_e32 v31, v0
	v_mov_b32_e32 v0, s8
	;; [unrolled: 1-line block ×6, first 2 shown]
	s_getpc_b64 s[4:5]
	s_add_u32 s4, s4, _ZN2at6native25elementwise_kernel_helperILb0EZZZNS0_12_GLOBAL__N_130modified_bessel_i0_kernel_cudaERNS_18TensorIteratorBaseEENKUlvE_clEvENKUlvE0_clEvEUlfE_NS0_6memory8policies11unroll_baseILi256ESt5arrayIPcLm2EE23TrivialOffsetCalculatorILi1EjESF_NS8_15LoadWithoutCastENS8_16StoreWithoutCastELi4ELi1EEEEEvT0_T1_@rel32@lo+4
	s_addc_u32 s5, s5, _ZN2at6native25elementwise_kernel_helperILb0EZZZNS0_12_GLOBAL__N_130modified_bessel_i0_kernel_cudaERNS_18TensorIteratorBaseEENKUlvE_clEvENKUlvE0_clEvEUlfE_NS0_6memory8policies11unroll_baseILi256ESt5arrayIPcLm2EE23TrivialOffsetCalculatorILi1EjESF_NS8_15LoadWithoutCastENS8_16StoreWithoutCastELi4ELi1EEEEEvT0_T1_@rel32@hi+12
	s_mov_b32 s12, s6
	s_swappc_b64 s[30:31], s[4:5]
	s_endpgm
	.section	.rodata,"a",@progbits
	.p2align	6, 0x0
	.amdhsa_kernel _ZN2at6native29vectorized_elementwise_kernelILi4EZZZNS0_12_GLOBAL__N_130modified_bessel_i0_kernel_cudaERNS_18TensorIteratorBaseEENKUlvE_clEvENKUlvE0_clEvEUlfE_St5arrayIPcLm2EEEEviT0_T1_
		.amdhsa_group_segment_fixed_size 0
		.amdhsa_private_segment_fixed_size 0
		.amdhsa_kernarg_size 24
		.amdhsa_user_sgpr_count 6
		.amdhsa_user_sgpr_private_segment_buffer 1
		.amdhsa_user_sgpr_dispatch_ptr 0
		.amdhsa_user_sgpr_queue_ptr 0
		.amdhsa_user_sgpr_kernarg_segment_ptr 1
		.amdhsa_user_sgpr_dispatch_id 0
		.amdhsa_user_sgpr_flat_scratch_init 0
		.amdhsa_user_sgpr_private_segment_size 0
		.amdhsa_wavefront_size32 1
		.amdhsa_uses_dynamic_stack 0
		.amdhsa_system_sgpr_private_segment_wavefront_offset 0
		.amdhsa_system_sgpr_workgroup_id_x 1
		.amdhsa_system_sgpr_workgroup_id_y 0
		.amdhsa_system_sgpr_workgroup_id_z 0
		.amdhsa_system_sgpr_workgroup_info 0
		.amdhsa_system_vgpr_workitem_id 0
		.amdhsa_next_free_vgpr 32
		.amdhsa_next_free_sgpr 33
		.amdhsa_reserve_vcc 1
		.amdhsa_reserve_flat_scratch 0
		.amdhsa_float_round_mode_32 0
		.amdhsa_float_round_mode_16_64 0
		.amdhsa_float_denorm_mode_32 3
		.amdhsa_float_denorm_mode_16_64 3
		.amdhsa_dx10_clamp 1
		.amdhsa_ieee_mode 1
		.amdhsa_fp16_overflow 0
		.amdhsa_workgroup_processor_mode 1
		.amdhsa_memory_ordered 1
		.amdhsa_forward_progress 1
		.amdhsa_shared_vgpr_count 0
		.amdhsa_exception_fp_ieee_invalid_op 0
		.amdhsa_exception_fp_denorm_src 0
		.amdhsa_exception_fp_ieee_div_zero 0
		.amdhsa_exception_fp_ieee_overflow 0
		.amdhsa_exception_fp_ieee_underflow 0
		.amdhsa_exception_fp_ieee_inexact 0
		.amdhsa_exception_int_div_zero 0
	.end_amdhsa_kernel
	.section	.text._ZN2at6native29vectorized_elementwise_kernelILi4EZZZNS0_12_GLOBAL__N_130modified_bessel_i0_kernel_cudaERNS_18TensorIteratorBaseEENKUlvE_clEvENKUlvE0_clEvEUlfE_St5arrayIPcLm2EEEEviT0_T1_,"axG",@progbits,_ZN2at6native29vectorized_elementwise_kernelILi4EZZZNS0_12_GLOBAL__N_130modified_bessel_i0_kernel_cudaERNS_18TensorIteratorBaseEENKUlvE_clEvENKUlvE0_clEvEUlfE_St5arrayIPcLm2EEEEviT0_T1_,comdat
.Lfunc_end13:
	.size	_ZN2at6native29vectorized_elementwise_kernelILi4EZZZNS0_12_GLOBAL__N_130modified_bessel_i0_kernel_cudaERNS_18TensorIteratorBaseEENKUlvE_clEvENKUlvE0_clEvEUlfE_St5arrayIPcLm2EEEEviT0_T1_, .Lfunc_end13-_ZN2at6native29vectorized_elementwise_kernelILi4EZZZNS0_12_GLOBAL__N_130modified_bessel_i0_kernel_cudaERNS_18TensorIteratorBaseEENKUlvE_clEvENKUlvE0_clEvEUlfE_St5arrayIPcLm2EEEEviT0_T1_
                                        ; -- End function
	.set _ZN2at6native29vectorized_elementwise_kernelILi4EZZZNS0_12_GLOBAL__N_130modified_bessel_i0_kernel_cudaERNS_18TensorIteratorBaseEENKUlvE_clEvENKUlvE0_clEvEUlfE_St5arrayIPcLm2EEEEviT0_T1_.num_vgpr, max(32, .L_ZN2at6native25elementwise_kernel_helperILb0EZZZNS0_12_GLOBAL__N_130modified_bessel_i0_kernel_cudaERNS_18TensorIteratorBaseEENKUlvE_clEvENKUlvE0_clEvEUlfE_NS0_6memory8policies11unroll_baseILi256ESt5arrayIPcLm2EE23TrivialOffsetCalculatorILi1EjESF_NS8_15LoadWithoutCastENS8_16StoreWithoutCastELi4ELi1EEEEEvT0_T1_.num_vgpr)
	.set _ZN2at6native29vectorized_elementwise_kernelILi4EZZZNS0_12_GLOBAL__N_130modified_bessel_i0_kernel_cudaERNS_18TensorIteratorBaseEENKUlvE_clEvENKUlvE0_clEvEUlfE_St5arrayIPcLm2EEEEviT0_T1_.num_agpr, max(0, .L_ZN2at6native25elementwise_kernel_helperILb0EZZZNS0_12_GLOBAL__N_130modified_bessel_i0_kernel_cudaERNS_18TensorIteratorBaseEENKUlvE_clEvENKUlvE0_clEvEUlfE_NS0_6memory8policies11unroll_baseILi256ESt5arrayIPcLm2EE23TrivialOffsetCalculatorILi1EjESF_NS8_15LoadWithoutCastENS8_16StoreWithoutCastELi4ELi1EEEEEvT0_T1_.num_agpr)
	.set _ZN2at6native29vectorized_elementwise_kernelILi4EZZZNS0_12_GLOBAL__N_130modified_bessel_i0_kernel_cudaERNS_18TensorIteratorBaseEENKUlvE_clEvENKUlvE0_clEvEUlfE_St5arrayIPcLm2EEEEviT0_T1_.numbered_sgpr, max(33, .L_ZN2at6native25elementwise_kernel_helperILb0EZZZNS0_12_GLOBAL__N_130modified_bessel_i0_kernel_cudaERNS_18TensorIteratorBaseEENKUlvE_clEvENKUlvE0_clEvEUlfE_NS0_6memory8policies11unroll_baseILi256ESt5arrayIPcLm2EE23TrivialOffsetCalculatorILi1EjESF_NS8_15LoadWithoutCastENS8_16StoreWithoutCastELi4ELi1EEEEEvT0_T1_.numbered_sgpr)
	.set _ZN2at6native29vectorized_elementwise_kernelILi4EZZZNS0_12_GLOBAL__N_130modified_bessel_i0_kernel_cudaERNS_18TensorIteratorBaseEENKUlvE_clEvENKUlvE0_clEvEUlfE_St5arrayIPcLm2EEEEviT0_T1_.num_named_barrier, max(0, .L_ZN2at6native25elementwise_kernel_helperILb0EZZZNS0_12_GLOBAL__N_130modified_bessel_i0_kernel_cudaERNS_18TensorIteratorBaseEENKUlvE_clEvENKUlvE0_clEvEUlfE_NS0_6memory8policies11unroll_baseILi256ESt5arrayIPcLm2EE23TrivialOffsetCalculatorILi1EjESF_NS8_15LoadWithoutCastENS8_16StoreWithoutCastELi4ELi1EEEEEvT0_T1_.num_named_barrier)
	.set _ZN2at6native29vectorized_elementwise_kernelILi4EZZZNS0_12_GLOBAL__N_130modified_bessel_i0_kernel_cudaERNS_18TensorIteratorBaseEENKUlvE_clEvENKUlvE0_clEvEUlfE_St5arrayIPcLm2EEEEviT0_T1_.private_seg_size, 0+max(.L_ZN2at6native25elementwise_kernel_helperILb0EZZZNS0_12_GLOBAL__N_130modified_bessel_i0_kernel_cudaERNS_18TensorIteratorBaseEENKUlvE_clEvENKUlvE0_clEvEUlfE_NS0_6memory8policies11unroll_baseILi256ESt5arrayIPcLm2EE23TrivialOffsetCalculatorILi1EjESF_NS8_15LoadWithoutCastENS8_16StoreWithoutCastELi4ELi1EEEEEvT0_T1_.private_seg_size)
	.set _ZN2at6native29vectorized_elementwise_kernelILi4EZZZNS0_12_GLOBAL__N_130modified_bessel_i0_kernel_cudaERNS_18TensorIteratorBaseEENKUlvE_clEvENKUlvE0_clEvEUlfE_St5arrayIPcLm2EEEEviT0_T1_.uses_vcc, or(1, .L_ZN2at6native25elementwise_kernel_helperILb0EZZZNS0_12_GLOBAL__N_130modified_bessel_i0_kernel_cudaERNS_18TensorIteratorBaseEENKUlvE_clEvENKUlvE0_clEvEUlfE_NS0_6memory8policies11unroll_baseILi256ESt5arrayIPcLm2EE23TrivialOffsetCalculatorILi1EjESF_NS8_15LoadWithoutCastENS8_16StoreWithoutCastELi4ELi1EEEEEvT0_T1_.uses_vcc)
	.set _ZN2at6native29vectorized_elementwise_kernelILi4EZZZNS0_12_GLOBAL__N_130modified_bessel_i0_kernel_cudaERNS_18TensorIteratorBaseEENKUlvE_clEvENKUlvE0_clEvEUlfE_St5arrayIPcLm2EEEEviT0_T1_.uses_flat_scratch, or(0, .L_ZN2at6native25elementwise_kernel_helperILb0EZZZNS0_12_GLOBAL__N_130modified_bessel_i0_kernel_cudaERNS_18TensorIteratorBaseEENKUlvE_clEvENKUlvE0_clEvEUlfE_NS0_6memory8policies11unroll_baseILi256ESt5arrayIPcLm2EE23TrivialOffsetCalculatorILi1EjESF_NS8_15LoadWithoutCastENS8_16StoreWithoutCastELi4ELi1EEEEEvT0_T1_.uses_flat_scratch)
	.set _ZN2at6native29vectorized_elementwise_kernelILi4EZZZNS0_12_GLOBAL__N_130modified_bessel_i0_kernel_cudaERNS_18TensorIteratorBaseEENKUlvE_clEvENKUlvE0_clEvEUlfE_St5arrayIPcLm2EEEEviT0_T1_.has_dyn_sized_stack, or(0, .L_ZN2at6native25elementwise_kernel_helperILb0EZZZNS0_12_GLOBAL__N_130modified_bessel_i0_kernel_cudaERNS_18TensorIteratorBaseEENKUlvE_clEvENKUlvE0_clEvEUlfE_NS0_6memory8policies11unroll_baseILi256ESt5arrayIPcLm2EE23TrivialOffsetCalculatorILi1EjESF_NS8_15LoadWithoutCastENS8_16StoreWithoutCastELi4ELi1EEEEEvT0_T1_.has_dyn_sized_stack)
	.set _ZN2at6native29vectorized_elementwise_kernelILi4EZZZNS0_12_GLOBAL__N_130modified_bessel_i0_kernel_cudaERNS_18TensorIteratorBaseEENKUlvE_clEvENKUlvE0_clEvEUlfE_St5arrayIPcLm2EEEEviT0_T1_.has_recursion, or(0, .L_ZN2at6native25elementwise_kernel_helperILb0EZZZNS0_12_GLOBAL__N_130modified_bessel_i0_kernel_cudaERNS_18TensorIteratorBaseEENKUlvE_clEvENKUlvE0_clEvEUlfE_NS0_6memory8policies11unroll_baseILi256ESt5arrayIPcLm2EE23TrivialOffsetCalculatorILi1EjESF_NS8_15LoadWithoutCastENS8_16StoreWithoutCastELi4ELi1EEEEEvT0_T1_.has_recursion)
	.set _ZN2at6native29vectorized_elementwise_kernelILi4EZZZNS0_12_GLOBAL__N_130modified_bessel_i0_kernel_cudaERNS_18TensorIteratorBaseEENKUlvE_clEvENKUlvE0_clEvEUlfE_St5arrayIPcLm2EEEEviT0_T1_.has_indirect_call, or(0, .L_ZN2at6native25elementwise_kernel_helperILb0EZZZNS0_12_GLOBAL__N_130modified_bessel_i0_kernel_cudaERNS_18TensorIteratorBaseEENKUlvE_clEvENKUlvE0_clEvEUlfE_NS0_6memory8policies11unroll_baseILi256ESt5arrayIPcLm2EE23TrivialOffsetCalculatorILi1EjESF_NS8_15LoadWithoutCastENS8_16StoreWithoutCastELi4ELi1EEEEEvT0_T1_.has_indirect_call)
	.section	.AMDGPU.csdata,"",@progbits
; Kernel info:
; codeLenInByte = 5776
; TotalNumSgprs: 35
; NumVgprs: 32
; ScratchSize: 0
; MemoryBound: 0
; FloatMode: 240
; IeeeMode: 1
; LDSByteSize: 0 bytes/workgroup (compile time only)
; SGPRBlocks: 0
; VGPRBlocks: 3
; NumSGPRsForWavesPerEU: 35
; NumVGPRsForWavesPerEU: 32
; Occupancy: 16
; WaveLimiterHint : 0
; COMPUTE_PGM_RSRC2:SCRATCH_EN: 0
; COMPUTE_PGM_RSRC2:USER_SGPR: 6
; COMPUTE_PGM_RSRC2:TRAP_HANDLER: 0
; COMPUTE_PGM_RSRC2:TGID_X_EN: 1
; COMPUTE_PGM_RSRC2:TGID_Y_EN: 0
; COMPUTE_PGM_RSRC2:TGID_Z_EN: 0
; COMPUTE_PGM_RSRC2:TIDIG_COMP_CNT: 0
	.section	.text._ZN2at6native29vectorized_elementwise_kernelILi2EZZZNS0_12_GLOBAL__N_130modified_bessel_i0_kernel_cudaERNS_18TensorIteratorBaseEENKUlvE_clEvENKUlvE0_clEvEUlfE_St5arrayIPcLm2EEEEviT0_T1_,"axG",@progbits,_ZN2at6native29vectorized_elementwise_kernelILi2EZZZNS0_12_GLOBAL__N_130modified_bessel_i0_kernel_cudaERNS_18TensorIteratorBaseEENKUlvE_clEvENKUlvE0_clEvEUlfE_St5arrayIPcLm2EEEEviT0_T1_,comdat
	.globl	_ZN2at6native29vectorized_elementwise_kernelILi2EZZZNS0_12_GLOBAL__N_130modified_bessel_i0_kernel_cudaERNS_18TensorIteratorBaseEENKUlvE_clEvENKUlvE0_clEvEUlfE_St5arrayIPcLm2EEEEviT0_T1_ ; -- Begin function _ZN2at6native29vectorized_elementwise_kernelILi2EZZZNS0_12_GLOBAL__N_130modified_bessel_i0_kernel_cudaERNS_18TensorIteratorBaseEENKUlvE_clEvENKUlvE0_clEvEUlfE_St5arrayIPcLm2EEEEviT0_T1_
	.p2align	8
	.type	_ZN2at6native29vectorized_elementwise_kernelILi2EZZZNS0_12_GLOBAL__N_130modified_bessel_i0_kernel_cudaERNS_18TensorIteratorBaseEENKUlvE_clEvENKUlvE0_clEvEUlfE_St5arrayIPcLm2EEEEviT0_T1_,@function
_ZN2at6native29vectorized_elementwise_kernelILi2EZZZNS0_12_GLOBAL__N_130modified_bessel_i0_kernel_cudaERNS_18TensorIteratorBaseEENKUlvE_clEvENKUlvE0_clEvEUlfE_St5arrayIPcLm2EEEEviT0_T1_: ; @_ZN2at6native29vectorized_elementwise_kernelILi2EZZZNS0_12_GLOBAL__N_130modified_bessel_i0_kernel_cudaERNS_18TensorIteratorBaseEENKUlvE_clEvENKUlvE0_clEvEUlfE_St5arrayIPcLm2EEEEviT0_T1_
; %bb.0:
	s_add_u32 s0, s0, s7
	s_clause 0x1
	s_load_dword s7, s[4:5], 0x0
	s_load_dwordx4 s[8:11], s[4:5], 0x8
	s_addc_u32 s1, s1, 0
	s_lshl_b32 s4, s6, 10
	s_mov_b32 s5, -1
	s_mov_b32 s32, 0
	s_waitcnt lgkmcnt(0)
	s_sub_i32 s7, s7, s4
	s_cmpk_gt_i32 s7, 0x3ff
	s_cbranch_scc1 .LBB14_3
; %bb.1:
	s_and_b32 vcc_lo, exec_lo, s5
	s_cbranch_vccnz .LBB14_20
.LBB14_2:
	s_endpgm
.LBB14_3:
	s_ashr_i32 s5, s4, 31
	v_lshlrev_b32_e32 v7, 3, v0
	s_lshl_b64 s[12:13], s[4:5], 2
                                        ; implicit-def: $vgpr3
	s_add_u32 s4, s10, s12
	s_addc_u32 s5, s11, s13
	v_add_co_u32 v1, s14, s4, v7
	v_add_co_ci_u32_e64 v2, null, s5, 0, s14
	global_load_dwordx2 v[5:6], v7, s[4:5]
	v_add_co_u32 v1, vcc_lo, 0x800, v1
	v_add_co_ci_u32_e64 v2, null, 0, v2, vcc_lo
	global_load_dwordx2 v[1:2], v[1:2], off
	s_waitcnt vmcnt(1)
	v_cmp_ge_f32_e64 s4, 0x41000000, |v5|
	v_mul_f32_e64 v4, 0x3fb8aa3b, |v5|
	s_and_saveexec_b32 s5, s4
	s_xor_b32 s4, exec_lo, s5
	s_cbranch_execz .LBB14_5
; %bb.4:
	v_fma_f32 v3, |v5|, 0.5, -2.0
	s_mov_b32 s5, 0xa2a2e5b9
	v_rndne_f32_e32 v10, v4
	v_fma_f32 v11, 0x3fb8aa3b, |v5|, -v4
	v_cmp_ngt_f32_e64 vcc_lo, 0xc2ce8ed0, |v5|
	v_fmaak_f32 v8, s5, v3, 0x24199b15
	v_sub_f32_e32 v4, v4, v10
	v_fma_f32 v11, 0x32a5705f, |v5|, v11
	v_cvt_i32_f32_e32 v10, v10
	v_fmaak_f32 v9, v3, v8, 0x22a2e5b9
	v_add_f32_e32 v4, v4, v11
	v_add_f32_e32 v9, 0xa58c275c, v9
	v_exp_f32_e32 v4, v4
	v_fma_f32 v8, v3, v9, -v8
	v_add_f32_e32 v8, 0x26f736c5, v8
	v_ldexp_f32 v4, v4, v10
	v_fma_f32 v9, v3, v8, -v9
	v_cndmask_b32_e32 v4, 0, v4, vcc_lo
	v_cmp_nlt_f32_e64 vcc_lo, 0x42b17218, |v5|
	v_add_f32_e32 v9, 0xa8528116, v9
	v_cndmask_b32_e32 v4, 0x7f800000, v4, vcc_lo
	v_fma_f32 v8, v3, v9, -v8
	v_add_f32_e32 v8, 0x29acda32, v8
	v_fma_f32 v9, v3, v8, -v9
	v_add_f32_e32 v9, 0xab08b263, v9
	;; [unrolled: 2-line block ×25, first 2 shown]
	v_sub_f32_e32 v3, v3, v8
	v_mul_f32_e32 v3, 0.5, v3
	v_mul_f32_e32 v3, v4, v3
                                        ; implicit-def: $vgpr4
.LBB14_5:
	s_andn2_saveexec_b32 s5, s4
	s_cbranch_execz .LBB14_7
; %bb.6:
	v_and_b32_e32 v3, 0x7fffffff, v5
	s_mov_b32 s4, 0xa3056dbb
	v_fma_f32 v12, 0x3fb8aa3b, |v5|, -v4
	v_div_scale_f32 v8, null, v3, v3, 0x42000000
	v_div_scale_f32 v3, vcc_lo, 0x42000000, v3, 0x42000000
	v_fma_f32 v12, 0x32a5705f, |v5|, v12
	v_rcp_f32_e32 v9, v8
	v_fma_f32 v10, -v8, v9, 1.0
	v_fmac_f32_e32 v9, v10, v9
	v_mul_f32_e32 v10, v3, v9
	v_fma_f32 v11, -v8, v10, v3
	v_fmac_f32_e32 v10, v11, v9
	v_rndne_f32_e32 v11, v4
	v_fma_f32 v3, -v8, v10, v3
	v_sub_f32_e32 v4, v4, v11
	v_cvt_i32_f32_e32 v11, v11
	v_div_fmas_f32 v3, v3, v9, v10
	v_mul_f32_e64 v10, 0x4f800000, |v5|
	v_cmp_gt_f32_e64 vcc_lo, 0xf800000, |v5|
	v_add_f32_e32 v4, v4, v12
	v_div_fixup_f32 v3, v3, |v5|, 0x42000000
	v_cndmask_b32_e64 v10, |v5|, v10, vcc_lo
	v_exp_f32_e32 v4, v4
	v_add_f32_e32 v3, -2.0, v3
	v_sqrt_f32_e32 v13, v10
	v_fmaak_f32 v8, s4, v3, 0xa2b236d3
	v_ldexp_f32 v4, v4, v11
	v_fmaak_f32 v9, v3, v8, 0x23056dbb
	v_add_nc_u32_e32 v12, -1, v13
	v_add_nc_u32_e32 v14, 1, v13
	v_add_f32_e32 v9, 0x244df0c1, v9
	v_fma_f32 v15, -v12, v13, v10
	v_fma_f32 v16, -v14, v13, v10
	v_fma_f32 v8, v3, v9, -v8
	v_cmp_ge_f32_e64 s4, 0, v15
	v_add_f32_e32 v8, 0x241f9ee8, v8
	v_cndmask_b32_e64 v12, v13, v12, s4
	v_cmp_lt_f32_e64 s4, 0, v16
	v_fma_f32 v9, v3, v8, -v9
	v_add_f32_e32 v9, 0xa5a3005d, v9
	v_fma_f32 v8, v3, v9, -v8
	v_add_f32_e32 v8, 0xa5c5773f, v8
	;; [unrolled: 2-line block ×20, first 2 shown]
	v_fma_f32 v3, v3, v8, -v9
	v_cndmask_b32_e64 v8, v12, v14, s4
	v_cmp_ngt_f32_e64 s4, 0xc2ce8ed0, |v5|
	v_add_f32_e32 v3, 0x3f4df315, v3
	v_mul_f32_e32 v11, 0x37800000, v8
	v_cndmask_b32_e64 v4, 0, v4, s4
	v_cmp_nlt_f32_e64 s4, 0x42b17218, |v5|
	v_sub_f32_e32 v3, v3, v9
	v_cndmask_b32_e32 v5, v8, v11, vcc_lo
	v_cmp_class_f32_e64 vcc_lo, v10, 0x260
	v_cndmask_b32_e64 v4, 0x7f800000, v4, s4
	v_mul_f32_e32 v3, 0.5, v3
	v_cndmask_b32_e32 v5, v5, v10, vcc_lo
	v_mul_f32_e32 v3, v4, v3
	v_div_scale_f32 v4, null, v5, v5, v3
	v_rcp_f32_e32 v8, v4
	v_fma_f32 v9, -v4, v8, 1.0
	v_fmac_f32_e32 v8, v9, v8
	v_div_scale_f32 v9, vcc_lo, v3, v5, v3
	v_mul_f32_e32 v10, v9, v8
	v_fma_f32 v11, -v4, v10, v9
	v_fmac_f32_e32 v10, v11, v8
	v_fma_f32 v4, -v4, v10, v9
	v_div_fmas_f32 v4, v4, v8, v10
	v_div_fixup_f32 v3, v4, v5, v3
.LBB14_7:
	s_or_b32 exec_lo, exec_lo, s5
	v_cmp_ge_f32_e64 s4, 0x41000000, |v6|
	v_mul_f32_e64 v5, 0x3fb8aa3b, |v6|
	s_and_saveexec_b32 s5, s4
	s_xor_b32 s4, exec_lo, s5
	s_cbranch_execz .LBB14_9
; %bb.8:
	v_fma_f32 v4, |v6|, 0.5, -2.0
	s_mov_b32 s5, 0xa2a2e5b9
	v_rndne_f32_e32 v10, v5
	v_fma_f32 v11, 0x3fb8aa3b, |v6|, -v5
	v_cmp_ngt_f32_e64 vcc_lo, 0xc2ce8ed0, |v6|
	v_fmaak_f32 v8, s5, v4, 0x24199b15
	v_sub_f32_e32 v5, v5, v10
	v_fma_f32 v11, 0x32a5705f, |v6|, v11
	v_cvt_i32_f32_e32 v10, v10
	v_fmaak_f32 v9, v4, v8, 0x22a2e5b9
	v_add_f32_e32 v5, v5, v11
	v_add_f32_e32 v9, 0xa58c275c, v9
	v_exp_f32_e32 v5, v5
	v_fma_f32 v8, v4, v9, -v8
	v_add_f32_e32 v8, 0x26f736c5, v8
	v_ldexp_f32 v5, v5, v10
	v_fma_f32 v9, v4, v8, -v9
	v_cndmask_b32_e32 v5, 0, v5, vcc_lo
	v_cmp_nlt_f32_e64 vcc_lo, 0x42b17218, |v6|
	v_add_f32_e32 v9, 0xa8528116, v9
	v_cndmask_b32_e32 v5, 0x7f800000, v5, vcc_lo
	v_fma_f32 v8, v4, v9, -v8
	v_add_f32_e32 v8, 0x29acda32, v8
	v_fma_f32 v9, v4, v8, -v9
	v_add_f32_e32 v9, 0xab08b263, v9
	;; [unrolled: 2-line block ×25, first 2 shown]
	v_sub_f32_e32 v4, v4, v8
	v_mul_f32_e32 v4, 0.5, v4
	v_mul_f32_e32 v4, v5, v4
                                        ; implicit-def: $vgpr5_vgpr6
                                        ; implicit-def: $vgpr5
.LBB14_9:
	s_andn2_saveexec_b32 s5, s4
	s_cbranch_execz .LBB14_11
; %bb.10:
	v_and_b32_e32 v4, 0x7fffffff, v6
	s_mov_b32 s4, 0xa3056dbb
	v_fma_f32 v12, 0x3fb8aa3b, |v6|, -v5
	v_div_scale_f32 v8, null, v4, v4, 0x42000000
	v_div_scale_f32 v4, vcc_lo, 0x42000000, v4, 0x42000000
	v_fma_f32 v12, 0x32a5705f, |v6|, v12
	v_rcp_f32_e32 v9, v8
	v_fma_f32 v10, -v8, v9, 1.0
	v_fmac_f32_e32 v9, v10, v9
	v_mul_f32_e32 v10, v4, v9
	v_fma_f32 v11, -v8, v10, v4
	v_fmac_f32_e32 v10, v11, v9
	v_rndne_f32_e32 v11, v5
	v_fma_f32 v4, -v8, v10, v4
	v_sub_f32_e32 v5, v5, v11
	v_cvt_i32_f32_e32 v11, v11
	v_div_fmas_f32 v4, v4, v9, v10
	v_mul_f32_e64 v10, 0x4f800000, |v6|
	v_cmp_gt_f32_e64 vcc_lo, 0xf800000, |v6|
	v_add_f32_e32 v5, v5, v12
	v_div_fixup_f32 v4, v4, |v6|, 0x42000000
	v_cndmask_b32_e64 v10, |v6|, v10, vcc_lo
	v_exp_f32_e32 v5, v5
	v_add_f32_e32 v4, -2.0, v4
	v_sqrt_f32_e32 v13, v10
	v_fmaak_f32 v8, s4, v4, 0xa2b236d3
	v_ldexp_f32 v5, v5, v11
	v_fmaak_f32 v9, v4, v8, 0x23056dbb
	v_add_nc_u32_e32 v12, -1, v13
	v_add_nc_u32_e32 v14, 1, v13
	v_add_f32_e32 v9, 0x244df0c1, v9
	v_fma_f32 v15, -v12, v13, v10
	v_fma_f32 v16, -v14, v13, v10
	v_fma_f32 v8, v4, v9, -v8
	v_cmp_ge_f32_e64 s4, 0, v15
	v_add_f32_e32 v8, 0x241f9ee8, v8
	v_cndmask_b32_e64 v12, v13, v12, s4
	v_cmp_lt_f32_e64 s4, 0, v16
	v_fma_f32 v9, v4, v8, -v9
	v_add_f32_e32 v9, 0xa5a3005d, v9
	v_fma_f32 v8, v4, v9, -v8
	v_add_f32_e32 v8, 0xa5c5773f, v8
	;; [unrolled: 2-line block ×20, first 2 shown]
	v_fma_f32 v4, v4, v8, -v9
	v_cndmask_b32_e64 v8, v12, v14, s4
	v_cmp_ngt_f32_e64 s4, 0xc2ce8ed0, |v6|
	v_add_f32_e32 v4, 0x3f4df315, v4
	v_mul_f32_e32 v11, 0x37800000, v8
	v_cndmask_b32_e64 v5, 0, v5, s4
	v_cmp_nlt_f32_e64 s4, 0x42b17218, |v6|
	v_sub_f32_e32 v4, v4, v9
	v_cndmask_b32_e32 v6, v8, v11, vcc_lo
	v_cmp_class_f32_e64 vcc_lo, v10, 0x260
	v_cndmask_b32_e64 v5, 0x7f800000, v5, s4
	v_mul_f32_e32 v4, 0.5, v4
	v_cndmask_b32_e32 v6, v6, v10, vcc_lo
	v_mul_f32_e32 v4, v5, v4
	v_div_scale_f32 v5, null, v6, v6, v4
	v_rcp_f32_e32 v8, v5
	v_fma_f32 v9, -v5, v8, 1.0
	v_fmac_f32_e32 v8, v9, v8
	v_div_scale_f32 v9, vcc_lo, v4, v6, v4
	v_mul_f32_e32 v10, v9, v8
	v_fma_f32 v11, -v5, v10, v9
	v_fmac_f32_e32 v10, v11, v8
	v_fma_f32 v5, -v5, v10, v9
	v_div_fmas_f32 v5, v5, v8, v10
	v_div_fixup_f32 v4, v5, v6, v4
.LBB14_11:
	s_or_b32 exec_lo, exec_lo, s5
	s_waitcnt vmcnt(0)
	v_cmp_ge_f32_e64 s4, 0x41000000, |v1|
	v_mul_f32_e64 v6, 0x3fb8aa3b, |v1|
                                        ; implicit-def: $vgpr5
	s_and_saveexec_b32 s5, s4
	s_xor_b32 s4, exec_lo, s5
	s_cbranch_execz .LBB14_13
; %bb.12:
	v_fma_f32 v5, |v1|, 0.5, -2.0
	s_mov_b32 s5, 0xa2a2e5b9
	v_rndne_f32_e32 v10, v6
	v_fma_f32 v11, 0x3fb8aa3b, |v1|, -v6
	v_cmp_ngt_f32_e64 vcc_lo, 0xc2ce8ed0, |v1|
	v_fmaak_f32 v8, s5, v5, 0x24199b15
	v_sub_f32_e32 v6, v6, v10
	v_fma_f32 v11, 0x32a5705f, |v1|, v11
	v_cvt_i32_f32_e32 v10, v10
	v_fmaak_f32 v9, v5, v8, 0x22a2e5b9
	v_add_f32_e32 v6, v6, v11
	v_add_f32_e32 v9, 0xa58c275c, v9
	v_exp_f32_e32 v6, v6
	v_fma_f32 v8, v5, v9, -v8
	v_add_f32_e32 v8, 0x26f736c5, v8
	v_ldexp_f32 v6, v6, v10
	v_fma_f32 v9, v5, v8, -v9
	v_cndmask_b32_e32 v6, 0, v6, vcc_lo
	v_cmp_nlt_f32_e64 vcc_lo, 0x42b17218, |v1|
	v_add_f32_e32 v9, 0xa8528116, v9
	v_cndmask_b32_e32 v6, 0x7f800000, v6, vcc_lo
	v_fma_f32 v8, v5, v9, -v8
	v_add_f32_e32 v8, 0x29acda32, v8
	v_fma_f32 v9, v5, v8, -v9
	v_add_f32_e32 v9, 0xab08b263, v9
	;; [unrolled: 2-line block ×25, first 2 shown]
	v_sub_f32_e32 v5, v5, v8
	v_mul_f32_e32 v5, 0.5, v5
	v_mul_f32_e32 v5, v6, v5
                                        ; implicit-def: $vgpr6
.LBB14_13:
	s_andn2_saveexec_b32 s5, s4
	s_cbranch_execz .LBB14_15
; %bb.14:
	v_and_b32_e32 v5, 0x7fffffff, v1
	s_mov_b32 s4, 0xa3056dbb
	v_fma_f32 v12, 0x3fb8aa3b, |v1|, -v6
	v_div_scale_f32 v8, null, v5, v5, 0x42000000
	v_div_scale_f32 v5, vcc_lo, 0x42000000, v5, 0x42000000
	v_fma_f32 v12, 0x32a5705f, |v1|, v12
	v_rcp_f32_e32 v9, v8
	v_fma_f32 v10, -v8, v9, 1.0
	v_fmac_f32_e32 v9, v10, v9
	v_mul_f32_e32 v10, v5, v9
	v_fma_f32 v11, -v8, v10, v5
	v_fmac_f32_e32 v10, v11, v9
	v_rndne_f32_e32 v11, v6
	v_fma_f32 v5, -v8, v10, v5
	v_sub_f32_e32 v6, v6, v11
	v_cvt_i32_f32_e32 v11, v11
	v_div_fmas_f32 v5, v5, v9, v10
	v_mul_f32_e64 v10, 0x4f800000, |v1|
	v_cmp_gt_f32_e64 vcc_lo, 0xf800000, |v1|
	v_add_f32_e32 v6, v6, v12
	v_div_fixup_f32 v5, v5, |v1|, 0x42000000
	v_cndmask_b32_e64 v10, |v1|, v10, vcc_lo
	v_exp_f32_e32 v6, v6
	v_add_f32_e32 v5, -2.0, v5
	v_sqrt_f32_e32 v13, v10
	v_fmaak_f32 v8, s4, v5, 0xa2b236d3
	v_ldexp_f32 v6, v6, v11
	v_fmaak_f32 v9, v5, v8, 0x23056dbb
	v_add_nc_u32_e32 v12, -1, v13
	v_add_nc_u32_e32 v14, 1, v13
	v_add_f32_e32 v9, 0x244df0c1, v9
	v_fma_f32 v15, -v12, v13, v10
	v_fma_f32 v16, -v14, v13, v10
	v_fma_f32 v8, v5, v9, -v8
	v_cmp_ge_f32_e64 s4, 0, v15
	v_add_f32_e32 v8, 0x241f9ee8, v8
	v_cndmask_b32_e64 v12, v13, v12, s4
	v_cmp_lt_f32_e64 s4, 0, v16
	v_fma_f32 v9, v5, v8, -v9
	v_add_f32_e32 v9, 0xa5a3005d, v9
	v_fma_f32 v8, v5, v9, -v8
	v_add_f32_e32 v8, 0xa5c5773f, v8
	;; [unrolled: 2-line block ×20, first 2 shown]
	v_fma_f32 v5, v5, v8, -v9
	v_cndmask_b32_e64 v8, v12, v14, s4
	v_cmp_ngt_f32_e64 s4, 0xc2ce8ed0, |v1|
	v_add_f32_e32 v5, 0x3f4df315, v5
	v_mul_f32_e32 v11, 0x37800000, v8
	v_cndmask_b32_e64 v6, 0, v6, s4
	v_cmp_nlt_f32_e64 s4, 0x42b17218, |v1|
	v_sub_f32_e32 v5, v5, v9
	v_cndmask_b32_e64 v1, 0x7f800000, v6, s4
	v_cndmask_b32_e32 v6, v8, v11, vcc_lo
	v_mul_f32_e32 v5, 0.5, v5
	v_cmp_class_f32_e64 vcc_lo, v10, 0x260
	v_mul_f32_e32 v1, v1, v5
	v_cndmask_b32_e32 v6, v6, v10, vcc_lo
	v_div_scale_f32 v5, null, v6, v6, v1
	v_rcp_f32_e32 v8, v5
	v_fma_f32 v9, -v5, v8, 1.0
	v_fmac_f32_e32 v8, v9, v8
	v_div_scale_f32 v9, vcc_lo, v1, v6, v1
	v_mul_f32_e32 v10, v9, v8
	v_fma_f32 v11, -v5, v10, v9
	v_fmac_f32_e32 v10, v11, v8
	v_fma_f32 v5, -v5, v10, v9
	v_div_fmas_f32 v5, v5, v8, v10
	v_div_fixup_f32 v5, v5, v6, v1
.LBB14_15:
	s_or_b32 exec_lo, exec_lo, s5
	v_cmp_ge_f32_e64 s4, 0x41000000, |v2|
	v_mul_f32_e64 v1, 0x3fb8aa3b, |v2|
	s_and_saveexec_b32 s5, s4
	s_xor_b32 s4, exec_lo, s5
	s_cbranch_execz .LBB14_17
; %bb.16:
	v_fma_f32 v6, |v2|, 0.5, -2.0
	s_mov_b32 s5, 0xa2a2e5b9
	v_rndne_f32_e32 v10, v1
	v_fma_f32 v11, 0x3fb8aa3b, |v2|, -v1
	v_cmp_ngt_f32_e64 vcc_lo, 0xc2ce8ed0, |v2|
	v_fmaak_f32 v8, s5, v6, 0x24199b15
	v_sub_f32_e32 v1, v1, v10
	v_fma_f32 v11, 0x32a5705f, |v2|, v11
	v_cvt_i32_f32_e32 v10, v10
	v_fmaak_f32 v9, v6, v8, 0x22a2e5b9
	v_add_f32_e32 v1, v1, v11
	v_add_f32_e32 v9, 0xa58c275c, v9
	v_exp_f32_e32 v1, v1
	v_fma_f32 v8, v6, v9, -v8
	v_add_f32_e32 v8, 0x26f736c5, v8
	v_ldexp_f32 v1, v1, v10
	v_fma_f32 v9, v6, v8, -v9
	v_cndmask_b32_e32 v1, 0, v1, vcc_lo
	v_cmp_nlt_f32_e64 vcc_lo, 0x42b17218, |v2|
	v_add_f32_e32 v9, 0xa8528116, v9
	v_cndmask_b32_e32 v1, 0x7f800000, v1, vcc_lo
	v_fma_f32 v8, v6, v9, -v8
	v_add_f32_e32 v8, 0x29acda32, v8
	v_fma_f32 v9, v6, v8, -v9
	v_add_f32_e32 v9, 0xab08b263, v9
	;; [unrolled: 2-line block ×25, first 2 shown]
	v_sub_f32_e32 v6, v6, v8
	v_mul_f32_e32 v2, 0.5, v6
	v_mul_f32_e32 v6, v1, v2
                                        ; implicit-def: $vgpr1_vgpr2
                                        ; implicit-def: $vgpr1
.LBB14_17:
	s_andn2_saveexec_b32 s5, s4
	s_cbranch_execz .LBB14_19
; %bb.18:
	v_and_b32_e32 v6, 0x7fffffff, v2
	s_mov_b32 s4, 0xa3056dbb
	v_fma_f32 v12, 0x3fb8aa3b, |v2|, -v1
	v_div_scale_f32 v8, null, v6, v6, 0x42000000
	v_div_scale_f32 v6, vcc_lo, 0x42000000, v6, 0x42000000
	v_fma_f32 v12, 0x32a5705f, |v2|, v12
	v_rcp_f32_e32 v9, v8
	v_fma_f32 v10, -v8, v9, 1.0
	v_fmac_f32_e32 v9, v10, v9
	v_mul_f32_e32 v10, v6, v9
	v_fma_f32 v11, -v8, v10, v6
	v_fmac_f32_e32 v10, v11, v9
	v_rndne_f32_e32 v11, v1
	v_fma_f32 v6, -v8, v10, v6
	v_sub_f32_e32 v1, v1, v11
	v_cvt_i32_f32_e32 v11, v11
	v_div_fmas_f32 v6, v6, v9, v10
	v_mul_f32_e64 v10, 0x4f800000, |v2|
	v_cmp_gt_f32_e64 vcc_lo, 0xf800000, |v2|
	v_add_f32_e32 v1, v1, v12
	v_div_fixup_f32 v6, v6, |v2|, 0x42000000
	v_cndmask_b32_e64 v10, |v2|, v10, vcc_lo
	v_exp_f32_e32 v1, v1
	v_add_f32_e32 v6, -2.0, v6
	v_sqrt_f32_e32 v13, v10
	v_fmaak_f32 v8, s4, v6, 0xa2b236d3
	v_ldexp_f32 v1, v1, v11
	v_fmaak_f32 v9, v6, v8, 0x23056dbb
	v_add_nc_u32_e32 v12, -1, v13
	v_add_nc_u32_e32 v14, 1, v13
	v_add_f32_e32 v9, 0x244df0c1, v9
	v_fma_f32 v15, -v12, v13, v10
	v_fma_f32 v16, -v14, v13, v10
	v_fma_f32 v8, v6, v9, -v8
	v_cmp_ge_f32_e64 s4, 0, v15
	v_add_f32_e32 v8, 0x241f9ee8, v8
	v_cndmask_b32_e64 v12, v13, v12, s4
	v_cmp_lt_f32_e64 s4, 0, v16
	v_fma_f32 v9, v6, v8, -v9
	v_add_f32_e32 v9, 0xa5a3005d, v9
	v_fma_f32 v8, v6, v9, -v8
	v_add_f32_e32 v8, 0xa5c5773f, v8
	;; [unrolled: 2-line block ×20, first 2 shown]
	v_fma_f32 v6, v6, v8, -v9
	v_cndmask_b32_e64 v8, v12, v14, s4
	v_cmp_ngt_f32_e64 s4, 0xc2ce8ed0, |v2|
	v_add_f32_e32 v6, 0x3f4df315, v6
	v_mul_f32_e32 v11, 0x37800000, v8
	v_cndmask_b32_e64 v1, 0, v1, s4
	v_cmp_nlt_f32_e64 s4, 0x42b17218, |v2|
	v_sub_f32_e32 v6, v6, v9
	v_cndmask_b32_e32 v2, v8, v11, vcc_lo
	v_cmp_class_f32_e64 vcc_lo, v10, 0x260
	v_cndmask_b32_e64 v1, 0x7f800000, v1, s4
	v_mul_f32_e32 v6, 0.5, v6
	v_cndmask_b32_e32 v2, v2, v10, vcc_lo
	v_mul_f32_e32 v1, v1, v6
	v_div_scale_f32 v6, null, v2, v2, v1
	v_rcp_f32_e32 v8, v6
	v_fma_f32 v9, -v6, v8, 1.0
	v_fmac_f32_e32 v8, v9, v8
	v_div_scale_f32 v9, vcc_lo, v1, v2, v1
	v_mul_f32_e32 v10, v9, v8
	v_fma_f32 v11, -v6, v10, v9
	v_fmac_f32_e32 v10, v11, v8
	v_fma_f32 v6, -v6, v10, v9
	v_div_fmas_f32 v6, v6, v8, v10
	v_div_fixup_f32 v6, v6, v2, v1
.LBB14_19:
	s_or_b32 exec_lo, exec_lo, s5
	s_add_u32 s4, s8, s12
	s_addc_u32 s5, s9, s13
	v_add_co_u32 v1, s12, s4, v7
	v_add_co_ci_u32_e64 v2, null, s5, 0, s12
	global_store_dwordx2 v7, v[3:4], s[4:5]
	v_add_co_u32 v1, vcc_lo, 0x800, v1
	v_add_co_ci_u32_e64 v2, null, 0, v2, vcc_lo
	global_store_dwordx2 v[1:2], v[5:6], off
	s_branch .LBB14_2
.LBB14_20:
	v_mov_b32_e32 v31, v0
	v_mov_b32_e32 v0, s8
	;; [unrolled: 1-line block ×6, first 2 shown]
	s_getpc_b64 s[4:5]
	s_add_u32 s4, s4, _ZN2at6native25elementwise_kernel_helperILb0EZZZNS0_12_GLOBAL__N_130modified_bessel_i0_kernel_cudaERNS_18TensorIteratorBaseEENKUlvE_clEvENKUlvE0_clEvEUlfE_NS0_6memory8policies11unroll_baseILi256ESt5arrayIPcLm2EE23TrivialOffsetCalculatorILi1EjESF_NS8_15LoadWithoutCastENS8_16StoreWithoutCastELi4ELi1EEEEEvT0_T1_@rel32@lo+4
	s_addc_u32 s5, s5, _ZN2at6native25elementwise_kernel_helperILb0EZZZNS0_12_GLOBAL__N_130modified_bessel_i0_kernel_cudaERNS_18TensorIteratorBaseEENKUlvE_clEvENKUlvE0_clEvEUlfE_NS0_6memory8policies11unroll_baseILi256ESt5arrayIPcLm2EE23TrivialOffsetCalculatorILi1EjESF_NS8_15LoadWithoutCastENS8_16StoreWithoutCastELi4ELi1EEEEEvT0_T1_@rel32@hi+12
	s_mov_b32 s12, s6
	s_swappc_b64 s[30:31], s[4:5]
	s_endpgm
	.section	.rodata,"a",@progbits
	.p2align	6, 0x0
	.amdhsa_kernel _ZN2at6native29vectorized_elementwise_kernelILi2EZZZNS0_12_GLOBAL__N_130modified_bessel_i0_kernel_cudaERNS_18TensorIteratorBaseEENKUlvE_clEvENKUlvE0_clEvEUlfE_St5arrayIPcLm2EEEEviT0_T1_
		.amdhsa_group_segment_fixed_size 0
		.amdhsa_private_segment_fixed_size 0
		.amdhsa_kernarg_size 24
		.amdhsa_user_sgpr_count 6
		.amdhsa_user_sgpr_private_segment_buffer 1
		.amdhsa_user_sgpr_dispatch_ptr 0
		.amdhsa_user_sgpr_queue_ptr 0
		.amdhsa_user_sgpr_kernarg_segment_ptr 1
		.amdhsa_user_sgpr_dispatch_id 0
		.amdhsa_user_sgpr_flat_scratch_init 0
		.amdhsa_user_sgpr_private_segment_size 0
		.amdhsa_wavefront_size32 1
		.amdhsa_uses_dynamic_stack 0
		.amdhsa_system_sgpr_private_segment_wavefront_offset 0
		.amdhsa_system_sgpr_workgroup_id_x 1
		.amdhsa_system_sgpr_workgroup_id_y 0
		.amdhsa_system_sgpr_workgroup_id_z 0
		.amdhsa_system_sgpr_workgroup_info 0
		.amdhsa_system_vgpr_workitem_id 0
		.amdhsa_next_free_vgpr 32
		.amdhsa_next_free_sgpr 33
		.amdhsa_reserve_vcc 1
		.amdhsa_reserve_flat_scratch 0
		.amdhsa_float_round_mode_32 0
		.amdhsa_float_round_mode_16_64 0
		.amdhsa_float_denorm_mode_32 3
		.amdhsa_float_denorm_mode_16_64 3
		.amdhsa_dx10_clamp 1
		.amdhsa_ieee_mode 1
		.amdhsa_fp16_overflow 0
		.amdhsa_workgroup_processor_mode 1
		.amdhsa_memory_ordered 1
		.amdhsa_forward_progress 1
		.amdhsa_shared_vgpr_count 0
		.amdhsa_exception_fp_ieee_invalid_op 0
		.amdhsa_exception_fp_denorm_src 0
		.amdhsa_exception_fp_ieee_div_zero 0
		.amdhsa_exception_fp_ieee_overflow 0
		.amdhsa_exception_fp_ieee_underflow 0
		.amdhsa_exception_fp_ieee_inexact 0
		.amdhsa_exception_int_div_zero 0
	.end_amdhsa_kernel
	.section	.text._ZN2at6native29vectorized_elementwise_kernelILi2EZZZNS0_12_GLOBAL__N_130modified_bessel_i0_kernel_cudaERNS_18TensorIteratorBaseEENKUlvE_clEvENKUlvE0_clEvEUlfE_St5arrayIPcLm2EEEEviT0_T1_,"axG",@progbits,_ZN2at6native29vectorized_elementwise_kernelILi2EZZZNS0_12_GLOBAL__N_130modified_bessel_i0_kernel_cudaERNS_18TensorIteratorBaseEENKUlvE_clEvENKUlvE0_clEvEUlfE_St5arrayIPcLm2EEEEviT0_T1_,comdat
.Lfunc_end14:
	.size	_ZN2at6native29vectorized_elementwise_kernelILi2EZZZNS0_12_GLOBAL__N_130modified_bessel_i0_kernel_cudaERNS_18TensorIteratorBaseEENKUlvE_clEvENKUlvE0_clEvEUlfE_St5arrayIPcLm2EEEEviT0_T1_, .Lfunc_end14-_ZN2at6native29vectorized_elementwise_kernelILi2EZZZNS0_12_GLOBAL__N_130modified_bessel_i0_kernel_cudaERNS_18TensorIteratorBaseEENKUlvE_clEvENKUlvE0_clEvEUlfE_St5arrayIPcLm2EEEEviT0_T1_
                                        ; -- End function
	.set _ZN2at6native29vectorized_elementwise_kernelILi2EZZZNS0_12_GLOBAL__N_130modified_bessel_i0_kernel_cudaERNS_18TensorIteratorBaseEENKUlvE_clEvENKUlvE0_clEvEUlfE_St5arrayIPcLm2EEEEviT0_T1_.num_vgpr, max(32, .L_ZN2at6native25elementwise_kernel_helperILb0EZZZNS0_12_GLOBAL__N_130modified_bessel_i0_kernel_cudaERNS_18TensorIteratorBaseEENKUlvE_clEvENKUlvE0_clEvEUlfE_NS0_6memory8policies11unroll_baseILi256ESt5arrayIPcLm2EE23TrivialOffsetCalculatorILi1EjESF_NS8_15LoadWithoutCastENS8_16StoreWithoutCastELi4ELi1EEEEEvT0_T1_.num_vgpr)
	.set _ZN2at6native29vectorized_elementwise_kernelILi2EZZZNS0_12_GLOBAL__N_130modified_bessel_i0_kernel_cudaERNS_18TensorIteratorBaseEENKUlvE_clEvENKUlvE0_clEvEUlfE_St5arrayIPcLm2EEEEviT0_T1_.num_agpr, max(0, .L_ZN2at6native25elementwise_kernel_helperILb0EZZZNS0_12_GLOBAL__N_130modified_bessel_i0_kernel_cudaERNS_18TensorIteratorBaseEENKUlvE_clEvENKUlvE0_clEvEUlfE_NS0_6memory8policies11unroll_baseILi256ESt5arrayIPcLm2EE23TrivialOffsetCalculatorILi1EjESF_NS8_15LoadWithoutCastENS8_16StoreWithoutCastELi4ELi1EEEEEvT0_T1_.num_agpr)
	.set _ZN2at6native29vectorized_elementwise_kernelILi2EZZZNS0_12_GLOBAL__N_130modified_bessel_i0_kernel_cudaERNS_18TensorIteratorBaseEENKUlvE_clEvENKUlvE0_clEvEUlfE_St5arrayIPcLm2EEEEviT0_T1_.numbered_sgpr, max(33, .L_ZN2at6native25elementwise_kernel_helperILb0EZZZNS0_12_GLOBAL__N_130modified_bessel_i0_kernel_cudaERNS_18TensorIteratorBaseEENKUlvE_clEvENKUlvE0_clEvEUlfE_NS0_6memory8policies11unroll_baseILi256ESt5arrayIPcLm2EE23TrivialOffsetCalculatorILi1EjESF_NS8_15LoadWithoutCastENS8_16StoreWithoutCastELi4ELi1EEEEEvT0_T1_.numbered_sgpr)
	.set _ZN2at6native29vectorized_elementwise_kernelILi2EZZZNS0_12_GLOBAL__N_130modified_bessel_i0_kernel_cudaERNS_18TensorIteratorBaseEENKUlvE_clEvENKUlvE0_clEvEUlfE_St5arrayIPcLm2EEEEviT0_T1_.num_named_barrier, max(0, .L_ZN2at6native25elementwise_kernel_helperILb0EZZZNS0_12_GLOBAL__N_130modified_bessel_i0_kernel_cudaERNS_18TensorIteratorBaseEENKUlvE_clEvENKUlvE0_clEvEUlfE_NS0_6memory8policies11unroll_baseILi256ESt5arrayIPcLm2EE23TrivialOffsetCalculatorILi1EjESF_NS8_15LoadWithoutCastENS8_16StoreWithoutCastELi4ELi1EEEEEvT0_T1_.num_named_barrier)
	.set _ZN2at6native29vectorized_elementwise_kernelILi2EZZZNS0_12_GLOBAL__N_130modified_bessel_i0_kernel_cudaERNS_18TensorIteratorBaseEENKUlvE_clEvENKUlvE0_clEvEUlfE_St5arrayIPcLm2EEEEviT0_T1_.private_seg_size, 0+max(.L_ZN2at6native25elementwise_kernel_helperILb0EZZZNS0_12_GLOBAL__N_130modified_bessel_i0_kernel_cudaERNS_18TensorIteratorBaseEENKUlvE_clEvENKUlvE0_clEvEUlfE_NS0_6memory8policies11unroll_baseILi256ESt5arrayIPcLm2EE23TrivialOffsetCalculatorILi1EjESF_NS8_15LoadWithoutCastENS8_16StoreWithoutCastELi4ELi1EEEEEvT0_T1_.private_seg_size)
	.set _ZN2at6native29vectorized_elementwise_kernelILi2EZZZNS0_12_GLOBAL__N_130modified_bessel_i0_kernel_cudaERNS_18TensorIteratorBaseEENKUlvE_clEvENKUlvE0_clEvEUlfE_St5arrayIPcLm2EEEEviT0_T1_.uses_vcc, or(1, .L_ZN2at6native25elementwise_kernel_helperILb0EZZZNS0_12_GLOBAL__N_130modified_bessel_i0_kernel_cudaERNS_18TensorIteratorBaseEENKUlvE_clEvENKUlvE0_clEvEUlfE_NS0_6memory8policies11unroll_baseILi256ESt5arrayIPcLm2EE23TrivialOffsetCalculatorILi1EjESF_NS8_15LoadWithoutCastENS8_16StoreWithoutCastELi4ELi1EEEEEvT0_T1_.uses_vcc)
	.set _ZN2at6native29vectorized_elementwise_kernelILi2EZZZNS0_12_GLOBAL__N_130modified_bessel_i0_kernel_cudaERNS_18TensorIteratorBaseEENKUlvE_clEvENKUlvE0_clEvEUlfE_St5arrayIPcLm2EEEEviT0_T1_.uses_flat_scratch, or(0, .L_ZN2at6native25elementwise_kernel_helperILb0EZZZNS0_12_GLOBAL__N_130modified_bessel_i0_kernel_cudaERNS_18TensorIteratorBaseEENKUlvE_clEvENKUlvE0_clEvEUlfE_NS0_6memory8policies11unroll_baseILi256ESt5arrayIPcLm2EE23TrivialOffsetCalculatorILi1EjESF_NS8_15LoadWithoutCastENS8_16StoreWithoutCastELi4ELi1EEEEEvT0_T1_.uses_flat_scratch)
	.set _ZN2at6native29vectorized_elementwise_kernelILi2EZZZNS0_12_GLOBAL__N_130modified_bessel_i0_kernel_cudaERNS_18TensorIteratorBaseEENKUlvE_clEvENKUlvE0_clEvEUlfE_St5arrayIPcLm2EEEEviT0_T1_.has_dyn_sized_stack, or(0, .L_ZN2at6native25elementwise_kernel_helperILb0EZZZNS0_12_GLOBAL__N_130modified_bessel_i0_kernel_cudaERNS_18TensorIteratorBaseEENKUlvE_clEvENKUlvE0_clEvEUlfE_NS0_6memory8policies11unroll_baseILi256ESt5arrayIPcLm2EE23TrivialOffsetCalculatorILi1EjESF_NS8_15LoadWithoutCastENS8_16StoreWithoutCastELi4ELi1EEEEEvT0_T1_.has_dyn_sized_stack)
	.set _ZN2at6native29vectorized_elementwise_kernelILi2EZZZNS0_12_GLOBAL__N_130modified_bessel_i0_kernel_cudaERNS_18TensorIteratorBaseEENKUlvE_clEvENKUlvE0_clEvEUlfE_St5arrayIPcLm2EEEEviT0_T1_.has_recursion, or(0, .L_ZN2at6native25elementwise_kernel_helperILb0EZZZNS0_12_GLOBAL__N_130modified_bessel_i0_kernel_cudaERNS_18TensorIteratorBaseEENKUlvE_clEvENKUlvE0_clEvEUlfE_NS0_6memory8policies11unroll_baseILi256ESt5arrayIPcLm2EE23TrivialOffsetCalculatorILi1EjESF_NS8_15LoadWithoutCastENS8_16StoreWithoutCastELi4ELi1EEEEEvT0_T1_.has_recursion)
	.set _ZN2at6native29vectorized_elementwise_kernelILi2EZZZNS0_12_GLOBAL__N_130modified_bessel_i0_kernel_cudaERNS_18TensorIteratorBaseEENKUlvE_clEvENKUlvE0_clEvEUlfE_St5arrayIPcLm2EEEEviT0_T1_.has_indirect_call, or(0, .L_ZN2at6native25elementwise_kernel_helperILb0EZZZNS0_12_GLOBAL__N_130modified_bessel_i0_kernel_cudaERNS_18TensorIteratorBaseEENKUlvE_clEvENKUlvE0_clEvEUlfE_NS0_6memory8policies11unroll_baseILi256ESt5arrayIPcLm2EE23TrivialOffsetCalculatorILi1EjESF_NS8_15LoadWithoutCastENS8_16StoreWithoutCastELi4ELi1EEEEEvT0_T1_.has_indirect_call)
	.section	.AMDGPU.csdata,"",@progbits
; Kernel info:
; codeLenInByte = 5868
; TotalNumSgprs: 35
; NumVgprs: 32
; ScratchSize: 0
; MemoryBound: 0
; FloatMode: 240
; IeeeMode: 1
; LDSByteSize: 0 bytes/workgroup (compile time only)
; SGPRBlocks: 0
; VGPRBlocks: 3
; NumSGPRsForWavesPerEU: 35
; NumVGPRsForWavesPerEU: 32
; Occupancy: 16
; WaveLimiterHint : 1
; COMPUTE_PGM_RSRC2:SCRATCH_EN: 0
; COMPUTE_PGM_RSRC2:USER_SGPR: 6
; COMPUTE_PGM_RSRC2:TRAP_HANDLER: 0
; COMPUTE_PGM_RSRC2:TGID_X_EN: 1
; COMPUTE_PGM_RSRC2:TGID_Y_EN: 0
; COMPUTE_PGM_RSRC2:TGID_Z_EN: 0
; COMPUTE_PGM_RSRC2:TIDIG_COMP_CNT: 0
	.section	.text._ZN2at6native27unrolled_elementwise_kernelIZZZNS0_12_GLOBAL__N_130modified_bessel_i0_kernel_cudaERNS_18TensorIteratorBaseEENKUlvE_clEvENKUlvE0_clEvEUlfE_St5arrayIPcLm2EELi4E23TrivialOffsetCalculatorILi1EjESC_NS0_6memory15LoadWithoutCastENSD_16StoreWithoutCastEEEviT_T0_T2_T3_T4_T5_,"axG",@progbits,_ZN2at6native27unrolled_elementwise_kernelIZZZNS0_12_GLOBAL__N_130modified_bessel_i0_kernel_cudaERNS_18TensorIteratorBaseEENKUlvE_clEvENKUlvE0_clEvEUlfE_St5arrayIPcLm2EELi4E23TrivialOffsetCalculatorILi1EjESC_NS0_6memory15LoadWithoutCastENSD_16StoreWithoutCastEEEviT_T0_T2_T3_T4_T5_,comdat
	.globl	_ZN2at6native27unrolled_elementwise_kernelIZZZNS0_12_GLOBAL__N_130modified_bessel_i0_kernel_cudaERNS_18TensorIteratorBaseEENKUlvE_clEvENKUlvE0_clEvEUlfE_St5arrayIPcLm2EELi4E23TrivialOffsetCalculatorILi1EjESC_NS0_6memory15LoadWithoutCastENSD_16StoreWithoutCastEEEviT_T0_T2_T3_T4_T5_ ; -- Begin function _ZN2at6native27unrolled_elementwise_kernelIZZZNS0_12_GLOBAL__N_130modified_bessel_i0_kernel_cudaERNS_18TensorIteratorBaseEENKUlvE_clEvENKUlvE0_clEvEUlfE_St5arrayIPcLm2EELi4E23TrivialOffsetCalculatorILi1EjESC_NS0_6memory15LoadWithoutCastENSD_16StoreWithoutCastEEEviT_T0_T2_T3_T4_T5_
	.p2align	8
	.type	_ZN2at6native27unrolled_elementwise_kernelIZZZNS0_12_GLOBAL__N_130modified_bessel_i0_kernel_cudaERNS_18TensorIteratorBaseEENKUlvE_clEvENKUlvE0_clEvEUlfE_St5arrayIPcLm2EELi4E23TrivialOffsetCalculatorILi1EjESC_NS0_6memory15LoadWithoutCastENSD_16StoreWithoutCastEEEviT_T0_T2_T3_T4_T5_,@function
_ZN2at6native27unrolled_elementwise_kernelIZZZNS0_12_GLOBAL__N_130modified_bessel_i0_kernel_cudaERNS_18TensorIteratorBaseEENKUlvE_clEvENKUlvE0_clEvEUlfE_St5arrayIPcLm2EELi4E23TrivialOffsetCalculatorILi1EjESC_NS0_6memory15LoadWithoutCastENSD_16StoreWithoutCastEEEviT_T0_T2_T3_T4_T5_: ; @_ZN2at6native27unrolled_elementwise_kernelIZZZNS0_12_GLOBAL__N_130modified_bessel_i0_kernel_cudaERNS_18TensorIteratorBaseEENKUlvE_clEvENKUlvE0_clEvEUlfE_St5arrayIPcLm2EELi4E23TrivialOffsetCalculatorILi1EjESC_NS0_6memory15LoadWithoutCastENSD_16StoreWithoutCastEEEviT_T0_T2_T3_T4_T5_
; %bb.0:
	s_add_u32 s0, s0, s7
	s_clause 0x1
	s_load_dword s7, s[4:5], 0x0
	s_load_dwordx4 s[8:11], s[4:5], 0x8
	s_addc_u32 s1, s1, 0
	s_lshl_b32 s12, s6, 10
	s_getpc_b64 s[4:5]
	s_add_u32 s4, s4, _ZN2at6native25elementwise_kernel_helperILb0EZZZNS0_12_GLOBAL__N_130modified_bessel_i0_kernel_cudaERNS_18TensorIteratorBaseEENKUlvE_clEvENKUlvE0_clEvEUlfE_NS0_6memory8policies11unroll_baseILi256ESt5arrayIPcLm2EE23TrivialOffsetCalculatorILi1EjESF_NS8_15LoadWithoutCastENS8_16StoreWithoutCastELi4ELi1EEEEEvT0_T1_@rel32@lo+4
	s_addc_u32 s5, s5, _ZN2at6native25elementwise_kernel_helperILb0EZZZNS0_12_GLOBAL__N_130modified_bessel_i0_kernel_cudaERNS_18TensorIteratorBaseEENKUlvE_clEvENKUlvE0_clEvEUlfE_NS0_6memory8policies11unroll_baseILi256ESt5arrayIPcLm2EE23TrivialOffsetCalculatorILi1EjESF_NS8_15LoadWithoutCastENS8_16StoreWithoutCastELi4ELi1EEEEEvT0_T1_@rel32@hi+12
	v_mov_b32_e32 v31, v0
	s_mov_b32 s32, 0
	s_waitcnt lgkmcnt(0)
	s_sub_i32 s7, s7, s12
	v_mov_b32_e32 v0, s8
	v_mov_b32_e32 v1, s9
	;; [unrolled: 1-line block ×5, first 2 shown]
	s_mov_b32 s12, s6
	s_swappc_b64 s[30:31], s[4:5]
	s_endpgm
	.section	.rodata,"a",@progbits
	.p2align	6, 0x0
	.amdhsa_kernel _ZN2at6native27unrolled_elementwise_kernelIZZZNS0_12_GLOBAL__N_130modified_bessel_i0_kernel_cudaERNS_18TensorIteratorBaseEENKUlvE_clEvENKUlvE0_clEvEUlfE_St5arrayIPcLm2EELi4E23TrivialOffsetCalculatorILi1EjESC_NS0_6memory15LoadWithoutCastENSD_16StoreWithoutCastEEEviT_T0_T2_T3_T4_T5_
		.amdhsa_group_segment_fixed_size 0
		.amdhsa_private_segment_fixed_size 0
		.amdhsa_kernarg_size 28
		.amdhsa_user_sgpr_count 6
		.amdhsa_user_sgpr_private_segment_buffer 1
		.amdhsa_user_sgpr_dispatch_ptr 0
		.amdhsa_user_sgpr_queue_ptr 0
		.amdhsa_user_sgpr_kernarg_segment_ptr 1
		.amdhsa_user_sgpr_dispatch_id 0
		.amdhsa_user_sgpr_flat_scratch_init 0
		.amdhsa_user_sgpr_private_segment_size 0
		.amdhsa_wavefront_size32 1
		.amdhsa_uses_dynamic_stack 0
		.amdhsa_system_sgpr_private_segment_wavefront_offset 0
		.amdhsa_system_sgpr_workgroup_id_x 1
		.amdhsa_system_sgpr_workgroup_id_y 0
		.amdhsa_system_sgpr_workgroup_id_z 0
		.amdhsa_system_sgpr_workgroup_info 0
		.amdhsa_system_vgpr_workitem_id 0
		.amdhsa_next_free_vgpr 32
		.amdhsa_next_free_sgpr 33
		.amdhsa_reserve_vcc 1
		.amdhsa_reserve_flat_scratch 0
		.amdhsa_float_round_mode_32 0
		.amdhsa_float_round_mode_16_64 0
		.amdhsa_float_denorm_mode_32 3
		.amdhsa_float_denorm_mode_16_64 3
		.amdhsa_dx10_clamp 1
		.amdhsa_ieee_mode 1
		.amdhsa_fp16_overflow 0
		.amdhsa_workgroup_processor_mode 1
		.amdhsa_memory_ordered 1
		.amdhsa_forward_progress 1
		.amdhsa_shared_vgpr_count 0
		.amdhsa_exception_fp_ieee_invalid_op 0
		.amdhsa_exception_fp_denorm_src 0
		.amdhsa_exception_fp_ieee_div_zero 0
		.amdhsa_exception_fp_ieee_overflow 0
		.amdhsa_exception_fp_ieee_underflow 0
		.amdhsa_exception_fp_ieee_inexact 0
		.amdhsa_exception_int_div_zero 0
	.end_amdhsa_kernel
	.section	.text._ZN2at6native27unrolled_elementwise_kernelIZZZNS0_12_GLOBAL__N_130modified_bessel_i0_kernel_cudaERNS_18TensorIteratorBaseEENKUlvE_clEvENKUlvE0_clEvEUlfE_St5arrayIPcLm2EELi4E23TrivialOffsetCalculatorILi1EjESC_NS0_6memory15LoadWithoutCastENSD_16StoreWithoutCastEEEviT_T0_T2_T3_T4_T5_,"axG",@progbits,_ZN2at6native27unrolled_elementwise_kernelIZZZNS0_12_GLOBAL__N_130modified_bessel_i0_kernel_cudaERNS_18TensorIteratorBaseEENKUlvE_clEvENKUlvE0_clEvEUlfE_St5arrayIPcLm2EELi4E23TrivialOffsetCalculatorILi1EjESC_NS0_6memory15LoadWithoutCastENSD_16StoreWithoutCastEEEviT_T0_T2_T3_T4_T5_,comdat
.Lfunc_end15:
	.size	_ZN2at6native27unrolled_elementwise_kernelIZZZNS0_12_GLOBAL__N_130modified_bessel_i0_kernel_cudaERNS_18TensorIteratorBaseEENKUlvE_clEvENKUlvE0_clEvEUlfE_St5arrayIPcLm2EELi4E23TrivialOffsetCalculatorILi1EjESC_NS0_6memory15LoadWithoutCastENSD_16StoreWithoutCastEEEviT_T0_T2_T3_T4_T5_, .Lfunc_end15-_ZN2at6native27unrolled_elementwise_kernelIZZZNS0_12_GLOBAL__N_130modified_bessel_i0_kernel_cudaERNS_18TensorIteratorBaseEENKUlvE_clEvENKUlvE0_clEvEUlfE_St5arrayIPcLm2EELi4E23TrivialOffsetCalculatorILi1EjESC_NS0_6memory15LoadWithoutCastENSD_16StoreWithoutCastEEEviT_T0_T2_T3_T4_T5_
                                        ; -- End function
	.set _ZN2at6native27unrolled_elementwise_kernelIZZZNS0_12_GLOBAL__N_130modified_bessel_i0_kernel_cudaERNS_18TensorIteratorBaseEENKUlvE_clEvENKUlvE0_clEvEUlfE_St5arrayIPcLm2EELi4E23TrivialOffsetCalculatorILi1EjESC_NS0_6memory15LoadWithoutCastENSD_16StoreWithoutCastEEEviT_T0_T2_T3_T4_T5_.num_vgpr, max(32, .L_ZN2at6native25elementwise_kernel_helperILb0EZZZNS0_12_GLOBAL__N_130modified_bessel_i0_kernel_cudaERNS_18TensorIteratorBaseEENKUlvE_clEvENKUlvE0_clEvEUlfE_NS0_6memory8policies11unroll_baseILi256ESt5arrayIPcLm2EE23TrivialOffsetCalculatorILi1EjESF_NS8_15LoadWithoutCastENS8_16StoreWithoutCastELi4ELi1EEEEEvT0_T1_.num_vgpr)
	.set _ZN2at6native27unrolled_elementwise_kernelIZZZNS0_12_GLOBAL__N_130modified_bessel_i0_kernel_cudaERNS_18TensorIteratorBaseEENKUlvE_clEvENKUlvE0_clEvEUlfE_St5arrayIPcLm2EELi4E23TrivialOffsetCalculatorILi1EjESC_NS0_6memory15LoadWithoutCastENSD_16StoreWithoutCastEEEviT_T0_T2_T3_T4_T5_.num_agpr, max(0, .L_ZN2at6native25elementwise_kernel_helperILb0EZZZNS0_12_GLOBAL__N_130modified_bessel_i0_kernel_cudaERNS_18TensorIteratorBaseEENKUlvE_clEvENKUlvE0_clEvEUlfE_NS0_6memory8policies11unroll_baseILi256ESt5arrayIPcLm2EE23TrivialOffsetCalculatorILi1EjESF_NS8_15LoadWithoutCastENS8_16StoreWithoutCastELi4ELi1EEEEEvT0_T1_.num_agpr)
	.set _ZN2at6native27unrolled_elementwise_kernelIZZZNS0_12_GLOBAL__N_130modified_bessel_i0_kernel_cudaERNS_18TensorIteratorBaseEENKUlvE_clEvENKUlvE0_clEvEUlfE_St5arrayIPcLm2EELi4E23TrivialOffsetCalculatorILi1EjESC_NS0_6memory15LoadWithoutCastENSD_16StoreWithoutCastEEEviT_T0_T2_T3_T4_T5_.numbered_sgpr, max(33, .L_ZN2at6native25elementwise_kernel_helperILb0EZZZNS0_12_GLOBAL__N_130modified_bessel_i0_kernel_cudaERNS_18TensorIteratorBaseEENKUlvE_clEvENKUlvE0_clEvEUlfE_NS0_6memory8policies11unroll_baseILi256ESt5arrayIPcLm2EE23TrivialOffsetCalculatorILi1EjESF_NS8_15LoadWithoutCastENS8_16StoreWithoutCastELi4ELi1EEEEEvT0_T1_.numbered_sgpr)
	.set _ZN2at6native27unrolled_elementwise_kernelIZZZNS0_12_GLOBAL__N_130modified_bessel_i0_kernel_cudaERNS_18TensorIteratorBaseEENKUlvE_clEvENKUlvE0_clEvEUlfE_St5arrayIPcLm2EELi4E23TrivialOffsetCalculatorILi1EjESC_NS0_6memory15LoadWithoutCastENSD_16StoreWithoutCastEEEviT_T0_T2_T3_T4_T5_.num_named_barrier, max(0, .L_ZN2at6native25elementwise_kernel_helperILb0EZZZNS0_12_GLOBAL__N_130modified_bessel_i0_kernel_cudaERNS_18TensorIteratorBaseEENKUlvE_clEvENKUlvE0_clEvEUlfE_NS0_6memory8policies11unroll_baseILi256ESt5arrayIPcLm2EE23TrivialOffsetCalculatorILi1EjESF_NS8_15LoadWithoutCastENS8_16StoreWithoutCastELi4ELi1EEEEEvT0_T1_.num_named_barrier)
	.set _ZN2at6native27unrolled_elementwise_kernelIZZZNS0_12_GLOBAL__N_130modified_bessel_i0_kernel_cudaERNS_18TensorIteratorBaseEENKUlvE_clEvENKUlvE0_clEvEUlfE_St5arrayIPcLm2EELi4E23TrivialOffsetCalculatorILi1EjESC_NS0_6memory15LoadWithoutCastENSD_16StoreWithoutCastEEEviT_T0_T2_T3_T4_T5_.private_seg_size, 0+max(.L_ZN2at6native25elementwise_kernel_helperILb0EZZZNS0_12_GLOBAL__N_130modified_bessel_i0_kernel_cudaERNS_18TensorIteratorBaseEENKUlvE_clEvENKUlvE0_clEvEUlfE_NS0_6memory8policies11unroll_baseILi256ESt5arrayIPcLm2EE23TrivialOffsetCalculatorILi1EjESF_NS8_15LoadWithoutCastENS8_16StoreWithoutCastELi4ELi1EEEEEvT0_T1_.private_seg_size)
	.set _ZN2at6native27unrolled_elementwise_kernelIZZZNS0_12_GLOBAL__N_130modified_bessel_i0_kernel_cudaERNS_18TensorIteratorBaseEENKUlvE_clEvENKUlvE0_clEvEUlfE_St5arrayIPcLm2EELi4E23TrivialOffsetCalculatorILi1EjESC_NS0_6memory15LoadWithoutCastENSD_16StoreWithoutCastEEEviT_T0_T2_T3_T4_T5_.uses_vcc, or(1, .L_ZN2at6native25elementwise_kernel_helperILb0EZZZNS0_12_GLOBAL__N_130modified_bessel_i0_kernel_cudaERNS_18TensorIteratorBaseEENKUlvE_clEvENKUlvE0_clEvEUlfE_NS0_6memory8policies11unroll_baseILi256ESt5arrayIPcLm2EE23TrivialOffsetCalculatorILi1EjESF_NS8_15LoadWithoutCastENS8_16StoreWithoutCastELi4ELi1EEEEEvT0_T1_.uses_vcc)
	.set _ZN2at6native27unrolled_elementwise_kernelIZZZNS0_12_GLOBAL__N_130modified_bessel_i0_kernel_cudaERNS_18TensorIteratorBaseEENKUlvE_clEvENKUlvE0_clEvEUlfE_St5arrayIPcLm2EELi4E23TrivialOffsetCalculatorILi1EjESC_NS0_6memory15LoadWithoutCastENSD_16StoreWithoutCastEEEviT_T0_T2_T3_T4_T5_.uses_flat_scratch, or(0, .L_ZN2at6native25elementwise_kernel_helperILb0EZZZNS0_12_GLOBAL__N_130modified_bessel_i0_kernel_cudaERNS_18TensorIteratorBaseEENKUlvE_clEvENKUlvE0_clEvEUlfE_NS0_6memory8policies11unroll_baseILi256ESt5arrayIPcLm2EE23TrivialOffsetCalculatorILi1EjESF_NS8_15LoadWithoutCastENS8_16StoreWithoutCastELi4ELi1EEEEEvT0_T1_.uses_flat_scratch)
	.set _ZN2at6native27unrolled_elementwise_kernelIZZZNS0_12_GLOBAL__N_130modified_bessel_i0_kernel_cudaERNS_18TensorIteratorBaseEENKUlvE_clEvENKUlvE0_clEvEUlfE_St5arrayIPcLm2EELi4E23TrivialOffsetCalculatorILi1EjESC_NS0_6memory15LoadWithoutCastENSD_16StoreWithoutCastEEEviT_T0_T2_T3_T4_T5_.has_dyn_sized_stack, or(0, .L_ZN2at6native25elementwise_kernel_helperILb0EZZZNS0_12_GLOBAL__N_130modified_bessel_i0_kernel_cudaERNS_18TensorIteratorBaseEENKUlvE_clEvENKUlvE0_clEvEUlfE_NS0_6memory8policies11unroll_baseILi256ESt5arrayIPcLm2EE23TrivialOffsetCalculatorILi1EjESF_NS8_15LoadWithoutCastENS8_16StoreWithoutCastELi4ELi1EEEEEvT0_T1_.has_dyn_sized_stack)
	.set _ZN2at6native27unrolled_elementwise_kernelIZZZNS0_12_GLOBAL__N_130modified_bessel_i0_kernel_cudaERNS_18TensorIteratorBaseEENKUlvE_clEvENKUlvE0_clEvEUlfE_St5arrayIPcLm2EELi4E23TrivialOffsetCalculatorILi1EjESC_NS0_6memory15LoadWithoutCastENSD_16StoreWithoutCastEEEviT_T0_T2_T3_T4_T5_.has_recursion, or(0, .L_ZN2at6native25elementwise_kernel_helperILb0EZZZNS0_12_GLOBAL__N_130modified_bessel_i0_kernel_cudaERNS_18TensorIteratorBaseEENKUlvE_clEvENKUlvE0_clEvEUlfE_NS0_6memory8policies11unroll_baseILi256ESt5arrayIPcLm2EE23TrivialOffsetCalculatorILi1EjESF_NS8_15LoadWithoutCastENS8_16StoreWithoutCastELi4ELi1EEEEEvT0_T1_.has_recursion)
	.set _ZN2at6native27unrolled_elementwise_kernelIZZZNS0_12_GLOBAL__N_130modified_bessel_i0_kernel_cudaERNS_18TensorIteratorBaseEENKUlvE_clEvENKUlvE0_clEvEUlfE_St5arrayIPcLm2EELi4E23TrivialOffsetCalculatorILi1EjESC_NS0_6memory15LoadWithoutCastENSD_16StoreWithoutCastEEEviT_T0_T2_T3_T4_T5_.has_indirect_call, or(0, .L_ZN2at6native25elementwise_kernel_helperILb0EZZZNS0_12_GLOBAL__N_130modified_bessel_i0_kernel_cudaERNS_18TensorIteratorBaseEENKUlvE_clEvENKUlvE0_clEvEUlfE_NS0_6memory8policies11unroll_baseILi256ESt5arrayIPcLm2EE23TrivialOffsetCalculatorILi1EjESF_NS8_15LoadWithoutCastENS8_16StoreWithoutCastELi4ELi1EEEEEvT0_T1_.has_indirect_call)
	.section	.AMDGPU.csdata,"",@progbits
; Kernel info:
; codeLenInByte = 100
; TotalNumSgprs: 35
; NumVgprs: 32
; ScratchSize: 0
; MemoryBound: 0
; FloatMode: 240
; IeeeMode: 1
; LDSByteSize: 0 bytes/workgroup (compile time only)
; SGPRBlocks: 0
; VGPRBlocks: 3
; NumSGPRsForWavesPerEU: 35
; NumVGPRsForWavesPerEU: 32
; Occupancy: 16
; WaveLimiterHint : 0
; COMPUTE_PGM_RSRC2:SCRATCH_EN: 0
; COMPUTE_PGM_RSRC2:USER_SGPR: 6
; COMPUTE_PGM_RSRC2:TRAP_HANDLER: 0
; COMPUTE_PGM_RSRC2:TGID_X_EN: 1
; COMPUTE_PGM_RSRC2:TGID_Y_EN: 0
; COMPUTE_PGM_RSRC2:TGID_Z_EN: 0
; COMPUTE_PGM_RSRC2:TIDIG_COMP_CNT: 0
	.section	.text._ZN2at6native32elementwise_kernel_manual_unrollILi128ELi4EZNS0_22gpu_kernel_impl_nocastIZZZNS0_12_GLOBAL__N_130modified_bessel_i0_kernel_cudaERNS_18TensorIteratorBaseEENKUlvE_clEvENKUlvE0_clEvEUlfE_EEvS5_RKT_EUlibE_EEviT1_,"axG",@progbits,_ZN2at6native32elementwise_kernel_manual_unrollILi128ELi4EZNS0_22gpu_kernel_impl_nocastIZZZNS0_12_GLOBAL__N_130modified_bessel_i0_kernel_cudaERNS_18TensorIteratorBaseEENKUlvE_clEvENKUlvE0_clEvEUlfE_EEvS5_RKT_EUlibE_EEviT1_,comdat
	.globl	_ZN2at6native32elementwise_kernel_manual_unrollILi128ELi4EZNS0_22gpu_kernel_impl_nocastIZZZNS0_12_GLOBAL__N_130modified_bessel_i0_kernel_cudaERNS_18TensorIteratorBaseEENKUlvE_clEvENKUlvE0_clEvEUlfE_EEvS5_RKT_EUlibE_EEviT1_ ; -- Begin function _ZN2at6native32elementwise_kernel_manual_unrollILi128ELi4EZNS0_22gpu_kernel_impl_nocastIZZZNS0_12_GLOBAL__N_130modified_bessel_i0_kernel_cudaERNS_18TensorIteratorBaseEENKUlvE_clEvENKUlvE0_clEvEUlfE_EEvS5_RKT_EUlibE_EEviT1_
	.p2align	8
	.type	_ZN2at6native32elementwise_kernel_manual_unrollILi128ELi4EZNS0_22gpu_kernel_impl_nocastIZZZNS0_12_GLOBAL__N_130modified_bessel_i0_kernel_cudaERNS_18TensorIteratorBaseEENKUlvE_clEvENKUlvE0_clEvEUlfE_EEvS5_RKT_EUlibE_EEviT1_,@function
_ZN2at6native32elementwise_kernel_manual_unrollILi128ELi4EZNS0_22gpu_kernel_impl_nocastIZZZNS0_12_GLOBAL__N_130modified_bessel_i0_kernel_cudaERNS_18TensorIteratorBaseEENKUlvE_clEvENKUlvE0_clEvEUlfE_EEvS5_RKT_EUlibE_EEviT1_: ; @_ZN2at6native32elementwise_kernel_manual_unrollILi128ELi4EZNS0_22gpu_kernel_impl_nocastIZZZNS0_12_GLOBAL__N_130modified_bessel_i0_kernel_cudaERNS_18TensorIteratorBaseEENKUlvE_clEvENKUlvE0_clEvEUlfE_EEvS5_RKT_EUlibE_EEviT1_
; %bb.0:
	s_clause 0x1
	s_load_dword s22, s[4:5], 0x8
	s_load_dword s27, s[4:5], 0x0
	v_lshl_or_b32 v4, s6, 9, v0
	s_add_u32 s2, s4, 8
	s_addc_u32 s3, s5, 0
	s_mov_b32 s0, exec_lo
	v_or_b32_e32 v10, 0x180, v4
	s_waitcnt lgkmcnt(0)
	s_add_i32 s23, s22, -1
	s_cmp_gt_u32 s23, 1
	s_cselect_b32 s24, -1, 0
	v_cmpx_le_i32_e64 s27, v10
	s_xor_b32 s25, exec_lo, s0
	s_cbranch_execz .LBB16_7
; %bb.1:
	s_clause 0x3
	s_load_dwordx4 s[12:15], s[2:3], 0x4
	s_load_dwordx2 s[16:17], s[2:3], 0x14
	s_load_dwordx4 s[8:11], s[2:3], 0xc4
	s_load_dwordx4 s[4:7], s[2:3], 0x148
	s_cmp_lg_u32 s22, 0
	s_mov_b32 s30, exec_lo
	s_cselect_b32 s29, -1, 0
	s_add_u32 s18, s2, 0xc4
	s_addc_u32 s19, s3, 0
	s_min_u32 s28, s23, 15
	s_cmp_gt_u32 s22, 1
	s_cselect_b32 s26, -1, 0
	v_cmpx_gt_i32_e64 s27, v4
	s_cbranch_execz .LBB16_14
; %bb.2:
	s_andn2_b32 vcc_lo, exec_lo, s24
	s_cbranch_vccnz .LBB16_21
; %bb.3:
	s_andn2_b32 vcc_lo, exec_lo, s29
	s_cbranch_vccnz .LBB16_89
; %bb.4:
	s_add_i32 s33, s28, 1
	s_cmp_eq_u32 s23, 2
	s_cbranch_scc1 .LBB16_91
; %bb.5:
	v_mov_b32_e32 v2, 0
	v_mov_b32_e32 v0, 0
	v_mov_b32_e32 v1, v4
	s_and_b32 s31, s33, 28
	s_mov_b32 s34, 0
	s_mov_b64 s[0:1], s[2:3]
	s_mov_b64 s[20:21], s[18:19]
.LBB16_6:                               ; =>This Inner Loop Header: Depth=1
	s_clause 0x1
	s_load_dwordx8 s[36:43], s[0:1], 0x4
	s_load_dwordx4 s[52:55], s[0:1], 0x24
	s_load_dwordx8 s[44:51], s[20:21], 0x0
	s_add_u32 s0, s0, 48
	s_addc_u32 s1, s1, 0
	s_add_i32 s34, s34, 4
	s_add_u32 s20, s20, 32
	s_addc_u32 s21, s21, 0
	s_cmp_lg_u32 s31, s34
	s_waitcnt lgkmcnt(0)
	v_mul_hi_u32 v3, s37, v1
	v_add_nc_u32_e32 v3, v1, v3
	v_lshrrev_b32_e32 v3, s38, v3
	v_mul_hi_u32 v5, s40, v3
	v_mul_lo_u32 v7, v3, s36
	v_add_nc_u32_e32 v5, v3, v5
	v_sub_nc_u32_e32 v1, v1, v7
	v_lshrrev_b32_e32 v5, s41, v5
	v_mul_lo_u32 v7, v1, s44
	v_mul_lo_u32 v9, v1, s45
	v_mul_hi_u32 v6, s43, v5
	v_add_nc_u32_e32 v6, v5, v6
	v_lshrrev_b32_e32 v6, s52, v6
	v_mul_hi_u32 v8, s54, v6
	v_mul_lo_u32 v10, v6, s42
	v_add_nc_u32_e32 v1, v6, v8
	v_mul_lo_u32 v8, v5, s39
	v_sub_nc_u32_e32 v5, v5, v10
	v_lshrrev_b32_e32 v1, s55, v1
	v_mul_lo_u32 v10, v5, s48
	v_mul_lo_u32 v5, v5, s49
	v_sub_nc_u32_e32 v3, v3, v8
	v_mul_lo_u32 v11, v1, s53
	v_mul_lo_u32 v8, v3, s46
	;; [unrolled: 1-line block ×3, first 2 shown]
	v_sub_nc_u32_e32 v6, v6, v11
	v_add3_u32 v0, v7, v0, v8
	v_mul_lo_u32 v11, v6, s50
	v_mul_lo_u32 v6, v6, s51
	v_add3_u32 v2, v9, v2, v3
	v_add3_u32 v0, v10, v0, v11
	;; [unrolled: 1-line block ×3, first 2 shown]
	s_cbranch_scc1 .LBB16_6
	s_branch .LBB16_92
.LBB16_7:
	s_andn2_saveexec_b32 s0, s25
	s_cbranch_execz .LBB16_125
.LBB16_8:
	v_cndmask_b32_e64 v9, 0, 1, s24
	s_andn2_b32 vcc_lo, exec_lo, s24
	s_cbranch_vccnz .LBB16_20
; %bb.9:
	s_cmp_lg_u32 s22, 0
	s_waitcnt lgkmcnt(0)
	s_mov_b32 s6, 0
	s_cbranch_scc0 .LBB16_23
; %bb.10:
	s_min_u32 s8, s23, 15
	s_add_i32 s8, s8, 1
	s_cmp_eq_u32 s23, 2
	s_cbranch_scc1 .LBB16_24
; %bb.11:
	v_mov_b32_e32 v5, 0
	v_mov_b32_e32 v0, 0
	;; [unrolled: 1-line block ×3, first 2 shown]
	s_and_b32 s7, s8, 28
	s_add_u32 s0, s2, 0xc4
	s_addc_u32 s1, s3, 0
	s_mov_b32 s9, 0
	s_mov_b64 s[4:5], s[2:3]
.LBB16_12:                              ; =>This Inner Loop Header: Depth=1
	s_clause 0x1
	s_load_dwordx8 s[12:19], s[4:5], 0x4
	s_load_dwordx4 s[36:39], s[4:5], 0x24
	s_load_dwordx8 s[24:31], s[0:1], 0x0
	s_add_u32 s4, s4, 48
	s_addc_u32 s5, s5, 0
	s_add_i32 s9, s9, 4
	s_add_u32 s0, s0, 32
	s_addc_u32 s1, s1, 0
	s_cmp_lg_u32 s7, s9
	s_waitcnt lgkmcnt(0)
	v_mul_hi_u32 v2, s13, v1
	v_add_nc_u32_e32 v2, v1, v2
	v_lshrrev_b32_e32 v2, s14, v2
	v_mul_hi_u32 v3, s16, v2
	v_mul_lo_u32 v7, v2, s12
	v_add_nc_u32_e32 v3, v2, v3
	v_sub_nc_u32_e32 v1, v1, v7
	v_lshrrev_b32_e32 v3, s17, v3
	v_mul_lo_u32 v7, v1, s24
	v_mul_lo_u32 v11, v1, s25
	v_mul_hi_u32 v6, s19, v3
	v_add_nc_u32_e32 v6, v3, v6
	v_lshrrev_b32_e32 v6, s36, v6
	v_mul_hi_u32 v8, s38, v6
	v_mul_lo_u32 v12, v6, s18
	v_add_nc_u32_e32 v1, v6, v8
	v_mul_lo_u32 v8, v3, s15
	v_sub_nc_u32_e32 v3, v3, v12
	v_lshrrev_b32_e32 v1, s39, v1
	v_mul_lo_u32 v12, v3, s28
	v_mul_lo_u32 v3, v3, s29
	v_sub_nc_u32_e32 v2, v2, v8
	v_mul_lo_u32 v13, v1, s37
	v_mul_lo_u32 v8, v2, s26
	;; [unrolled: 1-line block ×3, first 2 shown]
	v_sub_nc_u32_e32 v6, v6, v13
	v_add3_u32 v0, v7, v0, v8
	v_mul_lo_u32 v13, v6, s30
	v_mul_lo_u32 v6, v6, s31
	v_add3_u32 v2, v11, v5, v2
	v_add3_u32 v0, v12, v0, v13
	;; [unrolled: 1-line block ×3, first 2 shown]
	s_cbranch_scc1 .LBB16_12
; %bb.13:
	s_and_b32 s8, s8, 3
	s_cmp_eq_u32 s8, 0
	s_cbranch_scc0 .LBB16_25
	s_branch .LBB16_27
.LBB16_14:
	s_or_b32 exec_lo, exec_lo, s30
	s_mov_b32 s30, exec_lo
	v_cmpx_gt_i32_e64 s27, v4
	s_cbranch_execz .LBB16_103
.LBB16_15:
	s_andn2_b32 vcc_lo, exec_lo, s24
	s_cbranch_vccnz .LBB16_22
; %bb.16:
	s_andn2_b32 vcc_lo, exec_lo, s29
	s_cbranch_vccnz .LBB16_90
; %bb.17:
	s_add_i32 s33, s28, 1
	s_cmp_eq_u32 s23, 2
	s_cbranch_scc1 .LBB16_111
; %bb.18:
	v_mov_b32_e32 v2, 0
	v_mov_b32_e32 v0, 0
	;; [unrolled: 1-line block ×3, first 2 shown]
	s_and_b32 s31, s33, 28
	s_mov_b32 s34, 0
	s_mov_b64 s[0:1], s[2:3]
	s_mov_b64 s[20:21], s[18:19]
.LBB16_19:                              ; =>This Inner Loop Header: Depth=1
	s_clause 0x1
	s_load_dwordx8 s[36:43], s[0:1], 0x4
	s_load_dwordx4 s[52:55], s[0:1], 0x24
	s_load_dwordx8 s[44:51], s[20:21], 0x0
	s_add_u32 s0, s0, 48
	s_addc_u32 s1, s1, 0
	s_add_i32 s34, s34, 4
	s_add_u32 s20, s20, 32
	s_addc_u32 s21, s21, 0
	s_cmp_eq_u32 s31, s34
	s_waitcnt lgkmcnt(0)
	v_mul_hi_u32 v3, s37, v1
	v_add_nc_u32_e32 v3, v1, v3
	v_lshrrev_b32_e32 v3, s38, v3
	v_mul_hi_u32 v5, s40, v3
	v_mul_lo_u32 v7, v3, s36
	v_add_nc_u32_e32 v5, v3, v5
	v_sub_nc_u32_e32 v1, v1, v7
	v_lshrrev_b32_e32 v5, s41, v5
	v_mul_lo_u32 v7, v1, s44
	v_mul_lo_u32 v9, v1, s45
	v_mul_hi_u32 v6, s43, v5
	v_add_nc_u32_e32 v6, v5, v6
	v_lshrrev_b32_e32 v6, s52, v6
	v_mul_hi_u32 v8, s54, v6
	v_mul_lo_u32 v10, v6, s42
	v_add_nc_u32_e32 v1, v6, v8
	v_mul_lo_u32 v8, v5, s39
	v_sub_nc_u32_e32 v5, v5, v10
	v_lshrrev_b32_e32 v1, s55, v1
	v_mul_lo_u32 v10, v5, s48
	v_mul_lo_u32 v5, v5, s49
	v_sub_nc_u32_e32 v3, v3, v8
	v_mul_lo_u32 v11, v1, s53
	v_mul_lo_u32 v8, v3, s46
	v_mul_lo_u32 v3, v3, s47
	v_sub_nc_u32_e32 v6, v6, v11
	v_add3_u32 v0, v7, v0, v8
	v_mul_lo_u32 v11, v6, s50
	v_mul_lo_u32 v6, v6, s51
	v_add3_u32 v2, v9, v2, v3
	v_add3_u32 v0, v10, v0, v11
	;; [unrolled: 1-line block ×3, first 2 shown]
	s_cbranch_scc0 .LBB16_19
	s_branch .LBB16_112
.LBB16_20:
	s_waitcnt lgkmcnt(0)
	s_mov_b32 s6, -1
                                        ; implicit-def: $vgpr0
                                        ; implicit-def: $vgpr5
	s_branch .LBB16_27
.LBB16_21:
                                        ; implicit-def: $vgpr0
                                        ; implicit-def: $vgpr2
	s_branch .LBB16_96
.LBB16_22:
                                        ; implicit-def: $vgpr0
                                        ; implicit-def: $vgpr2
	s_branch .LBB16_116
.LBB16_23:
	v_mov_b32_e32 v0, 0
	v_mov_b32_e32 v5, 0
	s_branch .LBB16_27
.LBB16_24:
	v_mov_b32_e32 v0, 0
	v_mov_b32_e32 v5, 0
	;; [unrolled: 1-line block ×3, first 2 shown]
	s_mov_b32 s7, 0
	s_and_b32 s8, s8, 3
	s_cmp_eq_u32 s8, 0
	s_cbranch_scc1 .LBB16_27
.LBB16_25:
	s_lshl_b32 s0, s7, 3
	s_mul_i32 s4, s7, 12
	s_add_u32 s0, s2, s0
	s_addc_u32 s1, s3, 0
	s_add_u32 s0, s0, 0xc4
	s_addc_u32 s1, s1, 0
	s_add_u32 s4, s2, s4
	s_addc_u32 s5, s3, 0
	.p2align	6
.LBB16_26:                              ; =>This Inner Loop Header: Depth=1
	s_clause 0x1
	s_load_dwordx2 s[10:11], s[4:5], 0x4
	s_load_dword s7, s[4:5], 0xc
	s_load_dwordx2 s[12:13], s[0:1], 0x0
	s_add_u32 s4, s4, 12
	s_addc_u32 s5, s5, 0
	s_add_u32 s0, s0, 8
	s_addc_u32 s1, s1, 0
	s_add_i32 s8, s8, -1
	s_cmp_lg_u32 s8, 0
	s_waitcnt lgkmcnt(0)
	v_mul_hi_u32 v2, s11, v1
	v_add_nc_u32_e32 v2, v1, v2
	v_lshrrev_b32_e32 v2, s7, v2
	v_mul_lo_u32 v3, v2, s10
	v_sub_nc_u32_e32 v3, v1, v3
	v_mad_u64_u32 v[0:1], null, v3, s12, v[0:1]
	v_mad_u64_u32 v[5:6], null, v3, s13, v[5:6]
	v_mov_b32_e32 v1, v2
	s_cbranch_scc1 .LBB16_26
.LBB16_27:
	s_andn2_b32 vcc_lo, exec_lo, s6
	s_cbranch_vccnz .LBB16_30
; %bb.28:
	s_clause 0x1
	s_load_dwordx4 s[4:7], s[2:3], 0x4
	s_load_dwordx2 s[0:1], s[2:3], 0xc4
	s_cmp_lt_u32 s22, 2
	s_waitcnt lgkmcnt(0)
	v_mul_hi_u32 v0, s5, v4
	v_add_nc_u32_e32 v0, v4, v0
	v_lshrrev_b32_e32 v1, s6, v0
	v_mul_lo_u32 v0, v1, s4
	v_sub_nc_u32_e32 v2, v4, v0
	v_mul_lo_u32 v0, v2, s0
	v_mul_lo_u32 v5, v2, s1
	s_cbranch_scc1 .LBB16_30
; %bb.29:
	s_clause 0x1
	s_load_dwordx4 s[4:7], s[2:3], 0x10
	s_load_dwordx2 s[0:1], s[2:3], 0xcc
	s_waitcnt lgkmcnt(0)
	v_mul_hi_u32 v2, s5, v1
	v_add_nc_u32_e32 v2, v1, v2
	v_lshrrev_b32_e32 v2, s6, v2
	v_mul_lo_u32 v2, v2, s4
	v_sub_nc_u32_e32 v2, v1, v2
	v_mad_u64_u32 v[0:1], null, v2, s0, v[0:1]
	v_mad_u64_u32 v[5:6], null, v2, s1, v[5:6]
.LBB16_30:
	v_cmp_ne_u32_e32 vcc_lo, 1, v9
	v_add_nc_u32_e32 v3, 0x80, v4
	s_cbranch_vccnz .LBB16_36
; %bb.31:
	s_cmp_lg_u32 s22, 0
	s_mov_b32 s6, 0
	s_cbranch_scc0 .LBB16_37
; %bb.32:
	s_min_u32 s8, s23, 15
	s_add_i32 s8, s8, 1
	s_cmp_eq_u32 s23, 2
	s_cbranch_scc1 .LBB16_38
; %bb.33:
	v_mov_b32_e32 v6, 0
	v_mov_b32_e32 v1, 0
	;; [unrolled: 1-line block ×3, first 2 shown]
	s_and_b32 s7, s8, 28
	s_add_u32 s0, s2, 0xc4
	s_addc_u32 s1, s3, 0
	s_mov_b32 s9, 0
	s_mov_b64 s[4:5], s[2:3]
.LBB16_34:                              ; =>This Inner Loop Header: Depth=1
	s_clause 0x1
	s_load_dwordx8 s[12:19], s[4:5], 0x4
	s_load_dwordx4 s[36:39], s[4:5], 0x24
	s_load_dwordx8 s[24:31], s[0:1], 0x0
	s_add_u32 s4, s4, 48
	s_addc_u32 s5, s5, 0
	s_add_i32 s9, s9, 4
	s_add_u32 s0, s0, 32
	s_addc_u32 s1, s1, 0
	s_cmp_lg_u32 s7, s9
	s_waitcnt lgkmcnt(0)
	v_mul_hi_u32 v7, s13, v2
	v_add_nc_u32_e32 v7, v2, v7
	v_lshrrev_b32_e32 v7, s14, v7
	v_mul_hi_u32 v8, s16, v7
	v_mul_lo_u32 v12, v7, s12
	v_add_nc_u32_e32 v8, v7, v8
	v_sub_nc_u32_e32 v2, v2, v12
	v_lshrrev_b32_e32 v8, s17, v8
	v_mul_lo_u32 v12, v2, s24
	v_mul_lo_u32 v14, v2, s25
	v_mul_hi_u32 v11, s19, v8
	v_add_nc_u32_e32 v11, v8, v11
	v_lshrrev_b32_e32 v11, s36, v11
	v_mul_hi_u32 v13, s38, v11
	v_mul_lo_u32 v15, v11, s18
	v_add_nc_u32_e32 v2, v11, v13
	v_mul_lo_u32 v13, v8, s15
	v_sub_nc_u32_e32 v8, v8, v15
	v_lshrrev_b32_e32 v2, s39, v2
	v_mul_lo_u32 v15, v8, s28
	v_mul_lo_u32 v8, v8, s29
	v_sub_nc_u32_e32 v7, v7, v13
	v_mul_lo_u32 v16, v2, s37
	v_mul_lo_u32 v13, v7, s26
	;; [unrolled: 1-line block ×3, first 2 shown]
	v_sub_nc_u32_e32 v11, v11, v16
	v_add3_u32 v1, v12, v1, v13
	v_mul_lo_u32 v16, v11, s30
	v_mul_lo_u32 v11, v11, s31
	v_add3_u32 v6, v14, v6, v7
	v_add3_u32 v1, v15, v1, v16
	;; [unrolled: 1-line block ×3, first 2 shown]
	s_cbranch_scc1 .LBB16_34
; %bb.35:
	s_and_b32 s8, s8, 3
	s_cmp_eq_u32 s8, 0
	s_cbranch_scc0 .LBB16_39
	s_branch .LBB16_41
.LBB16_36:
	s_mov_b32 s6, -1
                                        ; implicit-def: $vgpr1
                                        ; implicit-def: $vgpr6
	s_branch .LBB16_41
.LBB16_37:
	v_mov_b32_e32 v1, 0
	v_mov_b32_e32 v6, 0
	s_branch .LBB16_41
.LBB16_38:
	v_mov_b32_e32 v1, 0
	v_mov_b32_e32 v6, 0
	;; [unrolled: 1-line block ×3, first 2 shown]
	s_mov_b32 s7, 0
	s_and_b32 s8, s8, 3
	s_cmp_eq_u32 s8, 0
	s_cbranch_scc1 .LBB16_41
.LBB16_39:
	s_lshl_b32 s0, s7, 3
	s_mul_i32 s4, s7, 12
	s_add_u32 s0, s2, s0
	s_addc_u32 s1, s3, 0
	s_add_u32 s0, s0, 0xc4
	s_addc_u32 s1, s1, 0
	;; [unrolled: 2-line block ×3, first 2 shown]
	.p2align	6
.LBB16_40:                              ; =>This Inner Loop Header: Depth=1
	s_clause 0x1
	s_load_dwordx2 s[10:11], s[4:5], 0x4
	s_load_dword s7, s[4:5], 0xc
	s_load_dwordx2 s[12:13], s[0:1], 0x0
	s_add_u32 s4, s4, 12
	s_addc_u32 s5, s5, 0
	s_add_u32 s0, s0, 8
	s_addc_u32 s1, s1, 0
	s_add_i32 s8, s8, -1
	s_cmp_lg_u32 s8, 0
	s_waitcnt lgkmcnt(0)
	v_mul_hi_u32 v7, s11, v2
	v_add_nc_u32_e32 v7, v2, v7
	v_lshrrev_b32_e32 v8, s7, v7
	v_mul_lo_u32 v7, v8, s10
	v_sub_nc_u32_e32 v7, v2, v7
	v_mad_u64_u32 v[1:2], null, v7, s12, v[1:2]
	v_mad_u64_u32 v[6:7], null, v7, s13, v[6:7]
	v_mov_b32_e32 v2, v8
	s_cbranch_scc1 .LBB16_40
.LBB16_41:
	s_andn2_b32 vcc_lo, exec_lo, s6
	s_cbranch_vccnz .LBB16_44
; %bb.42:
	s_clause 0x1
	s_load_dwordx4 s[4:7], s[2:3], 0x4
	s_load_dwordx2 s[0:1], s[2:3], 0xc4
	s_cmp_lt_u32 s22, 2
	s_waitcnt lgkmcnt(0)
	v_mul_hi_u32 v1, s5, v3
	v_add_nc_u32_e32 v1, v3, v1
	v_lshrrev_b32_e32 v2, s6, v1
	v_mul_lo_u32 v1, v2, s4
	v_sub_nc_u32_e32 v3, v3, v1
	v_mul_lo_u32 v1, v3, s0
	v_mul_lo_u32 v6, v3, s1
	s_cbranch_scc1 .LBB16_44
; %bb.43:
	s_clause 0x1
	s_load_dwordx4 s[4:7], s[2:3], 0x10
	s_load_dwordx2 s[0:1], s[2:3], 0xcc
	s_waitcnt lgkmcnt(0)
	v_mul_hi_u32 v3, s5, v2
	v_add_nc_u32_e32 v3, v2, v3
	v_lshrrev_b32_e32 v3, s6, v3
	v_mul_lo_u32 v3, v3, s4
	v_sub_nc_u32_e32 v3, v2, v3
	v_mad_u64_u32 v[1:2], null, v3, s0, v[1:2]
	v_mad_u64_u32 v[6:7], null, v3, s1, v[6:7]
.LBB16_44:
	v_cmp_ne_u32_e32 vcc_lo, 1, v9
	v_add_nc_u32_e32 v4, 0x100, v4
	s_cbranch_vccnz .LBB16_50
; %bb.45:
	s_cmp_lg_u32 s22, 0
	s_mov_b32 s6, 0
	s_cbranch_scc0 .LBB16_51
; %bb.46:
	s_min_u32 s8, s23, 15
	s_add_i32 s8, s8, 1
	s_cmp_eq_u32 s23, 2
	s_cbranch_scc1 .LBB16_52
; %bb.47:
	v_mov_b32_e32 v7, 0
	v_mov_b32_e32 v2, 0
	;; [unrolled: 1-line block ×3, first 2 shown]
	s_and_b32 s7, s8, 28
	s_add_u32 s0, s2, 0xc4
	s_addc_u32 s1, s3, 0
	s_mov_b32 s9, 0
	s_mov_b64 s[4:5], s[2:3]
.LBB16_48:                              ; =>This Inner Loop Header: Depth=1
	s_clause 0x1
	s_load_dwordx8 s[12:19], s[4:5], 0x4
	s_load_dwordx4 s[36:39], s[4:5], 0x24
	s_load_dwordx8 s[24:31], s[0:1], 0x0
	s_add_u32 s4, s4, 48
	s_addc_u32 s5, s5, 0
	s_add_i32 s9, s9, 4
	s_add_u32 s0, s0, 32
	s_addc_u32 s1, s1, 0
	s_cmp_lg_u32 s7, s9
	s_waitcnt lgkmcnt(0)
	v_mul_hi_u32 v8, s13, v3
	v_add_nc_u32_e32 v8, v3, v8
	v_lshrrev_b32_e32 v8, s14, v8
	v_mul_hi_u32 v11, s16, v8
	v_mul_lo_u32 v13, v8, s12
	v_add_nc_u32_e32 v11, v8, v11
	v_sub_nc_u32_e32 v3, v3, v13
	v_lshrrev_b32_e32 v11, s17, v11
	v_mul_lo_u32 v13, v3, s24
	v_mul_lo_u32 v15, v3, s25
	v_mul_hi_u32 v12, s19, v11
	v_add_nc_u32_e32 v12, v11, v12
	v_lshrrev_b32_e32 v12, s36, v12
	v_mul_hi_u32 v14, s38, v12
	v_mul_lo_u32 v16, v12, s18
	v_add_nc_u32_e32 v3, v12, v14
	v_mul_lo_u32 v14, v11, s15
	v_sub_nc_u32_e32 v11, v11, v16
	v_lshrrev_b32_e32 v3, s39, v3
	v_mul_lo_u32 v16, v11, s28
	v_mul_lo_u32 v11, v11, s29
	v_sub_nc_u32_e32 v8, v8, v14
	v_mul_lo_u32 v17, v3, s37
	v_mul_lo_u32 v14, v8, s26
	;; [unrolled: 1-line block ×3, first 2 shown]
	v_sub_nc_u32_e32 v12, v12, v17
	v_add3_u32 v2, v13, v2, v14
	v_mul_lo_u32 v17, v12, s30
	v_mul_lo_u32 v12, v12, s31
	v_add3_u32 v7, v15, v7, v8
	v_add3_u32 v2, v16, v2, v17
	v_add3_u32 v7, v11, v7, v12
	s_cbranch_scc1 .LBB16_48
; %bb.49:
	s_and_b32 s8, s8, 3
	s_cmp_eq_u32 s8, 0
	s_cbranch_scc0 .LBB16_53
	s_branch .LBB16_55
.LBB16_50:
	s_mov_b32 s6, -1
                                        ; implicit-def: $vgpr2
                                        ; implicit-def: $vgpr7
	s_branch .LBB16_55
.LBB16_51:
	v_mov_b32_e32 v2, 0
	v_mov_b32_e32 v7, 0
	s_branch .LBB16_55
.LBB16_52:
	v_mov_b32_e32 v2, 0
	v_mov_b32_e32 v7, 0
	;; [unrolled: 1-line block ×3, first 2 shown]
	s_mov_b32 s7, 0
	s_and_b32 s8, s8, 3
	s_cmp_eq_u32 s8, 0
	s_cbranch_scc1 .LBB16_55
.LBB16_53:
	s_lshl_b32 s0, s7, 3
	s_mul_i32 s4, s7, 12
	s_add_u32 s0, s2, s0
	s_addc_u32 s1, s3, 0
	s_add_u32 s0, s0, 0xc4
	s_addc_u32 s1, s1, 0
	;; [unrolled: 2-line block ×3, first 2 shown]
	.p2align	6
.LBB16_54:                              ; =>This Inner Loop Header: Depth=1
	s_clause 0x1
	s_load_dwordx2 s[10:11], s[4:5], 0x4
	s_load_dword s7, s[4:5], 0xc
	s_load_dwordx2 s[12:13], s[0:1], 0x0
	s_add_u32 s4, s4, 12
	s_addc_u32 s5, s5, 0
	s_add_u32 s0, s0, 8
	s_addc_u32 s1, s1, 0
	s_add_i32 s8, s8, -1
	s_cmp_lg_u32 s8, 0
	s_waitcnt lgkmcnt(0)
	v_mul_hi_u32 v8, s11, v3
	v_add_nc_u32_e32 v8, v3, v8
	v_lshrrev_b32_e32 v11, s7, v8
	v_mul_lo_u32 v8, v11, s10
	v_sub_nc_u32_e32 v8, v3, v8
	v_mad_u64_u32 v[2:3], null, v8, s12, v[2:3]
	v_mad_u64_u32 v[7:8], null, v8, s13, v[7:8]
	v_mov_b32_e32 v3, v11
	s_cbranch_scc1 .LBB16_54
.LBB16_55:
	s_andn2_b32 vcc_lo, exec_lo, s6
	s_cbranch_vccnz .LBB16_58
; %bb.56:
	s_clause 0x1
	s_load_dwordx4 s[4:7], s[2:3], 0x4
	s_load_dwordx2 s[0:1], s[2:3], 0xc4
	s_cmp_lt_u32 s22, 2
	s_waitcnt lgkmcnt(0)
	v_mul_hi_u32 v2, s5, v4
	v_add_nc_u32_e32 v2, v4, v2
	v_lshrrev_b32_e32 v3, s6, v2
	v_mul_lo_u32 v2, v3, s4
	v_sub_nc_u32_e32 v4, v4, v2
	v_mul_lo_u32 v2, v4, s0
	v_mul_lo_u32 v7, v4, s1
	s_cbranch_scc1 .LBB16_58
; %bb.57:
	s_clause 0x1
	s_load_dwordx4 s[4:7], s[2:3], 0x10
	s_load_dwordx2 s[0:1], s[2:3], 0xcc
	s_waitcnt lgkmcnt(0)
	v_mul_hi_u32 v4, s5, v3
	v_add_nc_u32_e32 v4, v3, v4
	v_lshrrev_b32_e32 v4, s6, v4
	v_mul_lo_u32 v4, v4, s4
	v_sub_nc_u32_e32 v4, v3, v4
	v_mad_u64_u32 v[2:3], null, v4, s0, v[2:3]
	v_mad_u64_u32 v[7:8], null, v4, s1, v[7:8]
.LBB16_58:
	v_cmp_ne_u32_e32 vcc_lo, 1, v9
	s_cbranch_vccnz .LBB16_64
; %bb.59:
	s_cmp_lg_u32 s22, 0
	s_mov_b32 s6, 0
	s_cbranch_scc0 .LBB16_65
; %bb.60:
	s_min_u32 s8, s23, 15
	s_add_i32 s8, s8, 1
	s_cmp_eq_u32 s23, 2
	s_cbranch_scc1 .LBB16_66
; %bb.61:
	v_mov_b32_e32 v8, 0
	v_mov_b32_e32 v3, 0
	;; [unrolled: 1-line block ×3, first 2 shown]
	s_and_b32 s7, s8, 28
	s_add_u32 s0, s2, 0xc4
	s_addc_u32 s1, s3, 0
	s_mov_b32 s9, 0
	s_mov_b64 s[4:5], s[2:3]
.LBB16_62:                              ; =>This Inner Loop Header: Depth=1
	s_clause 0x1
	s_load_dwordx8 s[12:19], s[4:5], 0x4
	s_load_dwordx4 s[36:39], s[4:5], 0x24
	s_load_dwordx8 s[24:31], s[0:1], 0x0
	s_add_u32 s4, s4, 48
	s_addc_u32 s5, s5, 0
	s_add_i32 s9, s9, 4
	s_add_u32 s0, s0, 32
	s_addc_u32 s1, s1, 0
	s_cmp_lg_u32 s7, s9
	s_waitcnt lgkmcnt(0)
	v_mul_hi_u32 v9, s13, v4
	v_add_nc_u32_e32 v9, v4, v9
	v_lshrrev_b32_e32 v9, s14, v9
	v_mul_hi_u32 v11, s16, v9
	v_mul_lo_u32 v13, v9, s12
	v_add_nc_u32_e32 v11, v9, v11
	v_sub_nc_u32_e32 v4, v4, v13
	v_lshrrev_b32_e32 v11, s17, v11
	v_mul_lo_u32 v13, v4, s24
	v_mul_lo_u32 v15, v4, s25
	v_mul_hi_u32 v12, s19, v11
	v_add_nc_u32_e32 v12, v11, v12
	v_lshrrev_b32_e32 v12, s36, v12
	v_mul_hi_u32 v14, s38, v12
	v_mul_lo_u32 v16, v12, s18
	v_add_nc_u32_e32 v4, v12, v14
	v_mul_lo_u32 v14, v11, s15
	v_sub_nc_u32_e32 v11, v11, v16
	v_lshrrev_b32_e32 v4, s39, v4
	v_mul_lo_u32 v16, v11, s28
	v_mul_lo_u32 v11, v11, s29
	v_sub_nc_u32_e32 v9, v9, v14
	v_mul_lo_u32 v17, v4, s37
	v_mul_lo_u32 v14, v9, s26
	;; [unrolled: 1-line block ×3, first 2 shown]
	v_sub_nc_u32_e32 v12, v12, v17
	v_add3_u32 v3, v13, v3, v14
	v_mul_lo_u32 v17, v12, s30
	v_mul_lo_u32 v12, v12, s31
	v_add3_u32 v8, v15, v8, v9
	v_add3_u32 v3, v16, v3, v17
	;; [unrolled: 1-line block ×3, first 2 shown]
	s_cbranch_scc1 .LBB16_62
; %bb.63:
	s_and_b32 s8, s8, 3
	s_cmp_eq_u32 s8, 0
	s_cbranch_scc0 .LBB16_67
	s_branch .LBB16_69
.LBB16_64:
	s_mov_b32 s6, -1
                                        ; implicit-def: $vgpr3
                                        ; implicit-def: $vgpr8
	s_branch .LBB16_69
.LBB16_65:
	v_mov_b32_e32 v3, 0
	v_mov_b32_e32 v8, 0
	s_branch .LBB16_69
.LBB16_66:
	v_mov_b32_e32 v3, 0
	v_mov_b32_e32 v8, 0
	;; [unrolled: 1-line block ×3, first 2 shown]
	s_mov_b32 s7, 0
	s_and_b32 s8, s8, 3
	s_cmp_eq_u32 s8, 0
	s_cbranch_scc1 .LBB16_69
.LBB16_67:
	s_lshl_b32 s0, s7, 3
	s_mul_i32 s4, s7, 12
	s_add_u32 s0, s2, s0
	s_addc_u32 s1, s3, 0
	s_add_u32 s0, s0, 0xc4
	s_addc_u32 s1, s1, 0
	;; [unrolled: 2-line block ×3, first 2 shown]
	.p2align	6
.LBB16_68:                              ; =>This Inner Loop Header: Depth=1
	s_clause 0x1
	s_load_dwordx2 s[10:11], s[4:5], 0x4
	s_load_dword s7, s[4:5], 0xc
	s_load_dwordx2 s[12:13], s[0:1], 0x0
	s_add_u32 s4, s4, 12
	s_addc_u32 s5, s5, 0
	s_add_u32 s0, s0, 8
	s_addc_u32 s1, s1, 0
	s_add_i32 s8, s8, -1
	s_cmp_lg_u32 s8, 0
	s_waitcnt lgkmcnt(0)
	v_mul_hi_u32 v9, s11, v4
	v_add_nc_u32_e32 v9, v4, v9
	v_lshrrev_b32_e32 v11, s7, v9
	v_mul_lo_u32 v9, v11, s10
	v_sub_nc_u32_e32 v9, v4, v9
	v_mad_u64_u32 v[3:4], null, v9, s12, v[3:4]
	v_mad_u64_u32 v[8:9], null, v9, s13, v[8:9]
	v_mov_b32_e32 v4, v11
	s_cbranch_scc1 .LBB16_68
.LBB16_69:
	s_andn2_b32 vcc_lo, exec_lo, s6
	s_cbranch_vccnz .LBB16_72
; %bb.70:
	s_clause 0x1
	s_load_dwordx4 s[4:7], s[2:3], 0x4
	s_load_dwordx2 s[0:1], s[2:3], 0xc4
	s_cmp_lt_u32 s22, 2
	s_waitcnt lgkmcnt(0)
	v_mul_hi_u32 v3, s5, v10
	v_add_nc_u32_e32 v3, v10, v3
	v_lshrrev_b32_e32 v4, s6, v3
	v_mul_lo_u32 v3, v4, s4
	v_sub_nc_u32_e32 v8, v10, v3
	v_mul_lo_u32 v3, v8, s0
	v_mul_lo_u32 v8, v8, s1
	s_cbranch_scc1 .LBB16_72
; %bb.71:
	s_clause 0x1
	s_load_dwordx4 s[4:7], s[2:3], 0x10
	s_load_dwordx2 s[0:1], s[2:3], 0xcc
	s_waitcnt lgkmcnt(0)
	v_mul_hi_u32 v9, s5, v4
	v_add_nc_u32_e32 v9, v4, v9
	v_lshrrev_b32_e32 v9, s6, v9
	v_mul_lo_u32 v9, v9, s4
	v_sub_nc_u32_e32 v9, v4, v9
	v_mad_u64_u32 v[3:4], null, v9, s0, v[3:4]
	v_mad_u64_u32 v[8:9], null, v9, s1, v[8:9]
.LBB16_72:
	s_load_dwordx4 s[4:7], s[2:3], 0x148
                                        ; implicit-def: $vgpr4
	s_waitcnt lgkmcnt(0)
	global_load_dword v5, v5, s[6:7]
	s_waitcnt vmcnt(0)
	v_cmp_ge_f32_e64 s0, 0x41000000, |v5|
	s_and_saveexec_b32 s1, s0
	s_xor_b32 s0, exec_lo, s1
	s_cbranch_execz .LBB16_74
; %bb.73:
	v_fma_f32 v4, |v5|, 0.5, -2.0
	s_mov_b32 s1, 0xa2a2e5b9
	v_mul_f32_e64 v11, 0x3fb8aa3b, |v5|
	v_cmp_ngt_f32_e64 vcc_lo, 0xc2ce8ed0, |v5|
	v_fmaak_f32 v9, s1, v4, 0x24199b15
	v_rndne_f32_e32 v12, v11
	v_fma_f32 v13, 0x3fb8aa3b, |v5|, -v11
	v_fmaak_f32 v10, v4, v9, 0x22a2e5b9
	v_sub_f32_e32 v11, v11, v12
	v_fma_f32 v13, 0x32a5705f, |v5|, v13
	v_cvt_i32_f32_e32 v12, v12
	v_add_f32_e32 v10, 0xa58c275c, v10
	v_add_f32_e32 v11, v11, v13
	v_fma_f32 v9, v4, v10, -v9
	v_exp_f32_e32 v11, v11
	v_add_f32_e32 v9, 0x26f736c5, v9
	v_fma_f32 v10, v4, v9, -v10
	v_add_f32_e32 v10, 0xa8528116, v10
	v_fma_f32 v9, v4, v10, -v9
	;; [unrolled: 2-line block ×26, first 2 shown]
	v_ldexp_f32 v10, v11, v12
	v_add_f32_e32 v4, 0x3f2d4275, v4
	v_cndmask_b32_e32 v10, 0, v10, vcc_lo
	v_cmp_nlt_f32_e64 vcc_lo, 0x42b17218, |v5|
	v_sub_f32_e32 v4, v4, v9
	v_cndmask_b32_e32 v5, 0x7f800000, v10, vcc_lo
	v_mul_f32_e32 v4, 0.5, v4
	v_mul_f32_e32 v4, v5, v4
                                        ; implicit-def: $vgpr5
.LBB16_74:
	s_andn2_saveexec_b32 s1, s0
	s_cbranch_execz .LBB16_76
; %bb.75:
	v_and_b32_e32 v4, 0x7fffffff, v5
	s_mov_b32 s0, 0xa3056dbb
	v_div_scale_f32 v9, null, v4, v4, 0x42000000
	v_div_scale_f32 v4, vcc_lo, 0x42000000, v4, 0x42000000
	v_rcp_f32_e32 v10, v9
	v_fma_f32 v11, -v9, v10, 1.0
	v_fmac_f32_e32 v10, v11, v10
	v_mul_f32_e32 v11, v4, v10
	v_fma_f32 v12, -v9, v11, v4
	v_fmac_f32_e32 v11, v12, v10
	v_mul_f32_e64 v12, 0x3fb8aa3b, |v5|
	v_fma_f32 v4, -v9, v11, v4
	v_rndne_f32_e32 v13, v12
	v_fma_f32 v14, 0x3fb8aa3b, |v5|, -v12
	v_div_fmas_f32 v4, v4, v10, v11
	v_mul_f32_e64 v11, 0x4f800000, |v5|
	v_cmp_gt_f32_e64 vcc_lo, 0xf800000, |v5|
	v_sub_f32_e32 v12, v12, v13
	v_fma_f32 v14, 0x32a5705f, |v5|, v14
	v_div_fixup_f32 v4, v4, |v5|, 0x42000000
	v_cvt_i32_f32_e32 v13, v13
	v_cndmask_b32_e64 v11, |v5|, v11, vcc_lo
	v_add_f32_e32 v12, v12, v14
	v_add_f32_e32 v4, -2.0, v4
	v_sqrt_f32_e32 v15, v11
	v_exp_f32_e32 v12, v12
	v_fmaak_f32 v9, s0, v4, 0xa2b236d3
	v_fmaak_f32 v10, v4, v9, 0x23056dbb
	v_add_nc_u32_e32 v14, -1, v15
	v_add_nc_u32_e32 v16, 1, v15
	v_add_f32_e32 v10, 0x244df0c1, v10
	v_fma_f32 v17, -v14, v15, v11
	v_fma_f32 v18, -v16, v15, v11
	v_fma_f32 v9, v4, v10, -v9
	v_cmp_ge_f32_e64 s0, 0, v17
	v_add_f32_e32 v9, 0x241f9ee8, v9
	v_cndmask_b32_e64 v14, v15, v14, s0
	v_cmp_lt_f32_e64 s0, 0, v18
	v_fma_f32 v10, v4, v9, -v10
	v_add_f32_e32 v10, 0xa5a3005d, v10
	v_fma_f32 v9, v4, v10, -v9
	v_add_f32_e32 v9, 0xa5c5773f, v9
	;; [unrolled: 2-line block ×20, first 2 shown]
	v_fma_f32 v4, v4, v9, -v10
	v_ldexp_f32 v9, v12, v13
	v_cndmask_b32_e64 v12, v14, v16, s0
	v_cmp_ngt_f32_e64 s0, 0xc2ce8ed0, |v5|
	v_add_f32_e32 v4, 0x3f4df315, v4
	v_mul_f32_e32 v13, 0x37800000, v12
	v_cndmask_b32_e64 v9, 0, v9, s0
	v_cmp_nlt_f32_e64 s0, 0x42b17218, |v5|
	v_sub_f32_e32 v4, v4, v10
	v_cndmask_b32_e64 v5, 0x7f800000, v9, s0
	v_cndmask_b32_e32 v9, v12, v13, vcc_lo
	v_mul_f32_e32 v4, 0.5, v4
	v_cmp_class_f32_e64 vcc_lo, v11, 0x260
	v_mul_f32_e32 v4, v5, v4
	v_cndmask_b32_e32 v9, v9, v11, vcc_lo
	v_div_scale_f32 v5, null, v9, v9, v4
	v_rcp_f32_e32 v10, v5
	v_fma_f32 v11, -v5, v10, 1.0
	v_fmac_f32_e32 v10, v11, v10
	v_div_scale_f32 v11, vcc_lo, v4, v9, v4
	v_mul_f32_e32 v12, v11, v10
	v_fma_f32 v13, -v5, v12, v11
	v_fmac_f32_e32 v12, v13, v10
	v_fma_f32 v5, -v5, v12, v11
	v_div_fmas_f32 v5, v5, v10, v12
	v_div_fixup_f32 v4, v5, v9, v4
.LBB16_76:
	s_or_b32 exec_lo, exec_lo, s1
	global_load_dword v6, v6, s[6:7]
                                        ; implicit-def: $vgpr5
	s_waitcnt vmcnt(0)
	v_cmp_ge_f32_e64 s0, 0x41000000, |v6|
	s_and_saveexec_b32 s1, s0
	s_xor_b32 s0, exec_lo, s1
	s_cbranch_execz .LBB16_78
; %bb.77:
	v_fma_f32 v5, |v6|, 0.5, -2.0
	s_mov_b32 s1, 0xa2a2e5b9
	v_mul_f32_e64 v11, 0x3fb8aa3b, |v6|
	v_cmp_ngt_f32_e64 vcc_lo, 0xc2ce8ed0, |v6|
	v_fmaak_f32 v9, s1, v5, 0x24199b15
	v_rndne_f32_e32 v12, v11
	v_fma_f32 v13, 0x3fb8aa3b, |v6|, -v11
	v_fmaak_f32 v10, v5, v9, 0x22a2e5b9
	v_sub_f32_e32 v11, v11, v12
	v_fma_f32 v13, 0x32a5705f, |v6|, v13
	v_cvt_i32_f32_e32 v12, v12
	v_add_f32_e32 v10, 0xa58c275c, v10
	v_add_f32_e32 v11, v11, v13
	v_fma_f32 v9, v5, v10, -v9
	v_exp_f32_e32 v11, v11
	v_add_f32_e32 v9, 0x26f736c5, v9
	v_fma_f32 v10, v5, v9, -v10
	v_add_f32_e32 v10, 0xa8528116, v10
	v_fma_f32 v9, v5, v10, -v9
	;; [unrolled: 2-line block ×26, first 2 shown]
	v_ldexp_f32 v10, v11, v12
	v_add_f32_e32 v5, 0x3f2d4275, v5
	v_cndmask_b32_e32 v10, 0, v10, vcc_lo
	v_cmp_nlt_f32_e64 vcc_lo, 0x42b17218, |v6|
	v_sub_f32_e32 v5, v5, v9
	v_cndmask_b32_e32 v6, 0x7f800000, v10, vcc_lo
	v_mul_f32_e32 v5, 0.5, v5
	v_mul_f32_e32 v5, v6, v5
                                        ; implicit-def: $vgpr6
.LBB16_78:
	s_andn2_saveexec_b32 s1, s0
	s_cbranch_execz .LBB16_80
; %bb.79:
	v_and_b32_e32 v5, 0x7fffffff, v6
	s_mov_b32 s0, 0xa3056dbb
	v_div_scale_f32 v9, null, v5, v5, 0x42000000
	v_div_scale_f32 v5, vcc_lo, 0x42000000, v5, 0x42000000
	v_rcp_f32_e32 v10, v9
	v_fma_f32 v11, -v9, v10, 1.0
	v_fmac_f32_e32 v10, v11, v10
	v_mul_f32_e32 v11, v5, v10
	v_fma_f32 v12, -v9, v11, v5
	v_fmac_f32_e32 v11, v12, v10
	v_mul_f32_e64 v12, 0x3fb8aa3b, |v6|
	v_fma_f32 v5, -v9, v11, v5
	v_rndne_f32_e32 v13, v12
	v_fma_f32 v14, 0x3fb8aa3b, |v6|, -v12
	v_div_fmas_f32 v5, v5, v10, v11
	v_mul_f32_e64 v11, 0x4f800000, |v6|
	v_cmp_gt_f32_e64 vcc_lo, 0xf800000, |v6|
	v_sub_f32_e32 v12, v12, v13
	v_fma_f32 v14, 0x32a5705f, |v6|, v14
	v_div_fixup_f32 v5, v5, |v6|, 0x42000000
	v_cvt_i32_f32_e32 v13, v13
	v_cndmask_b32_e64 v11, |v6|, v11, vcc_lo
	v_add_f32_e32 v12, v12, v14
	v_add_f32_e32 v5, -2.0, v5
	v_sqrt_f32_e32 v15, v11
	v_exp_f32_e32 v12, v12
	v_fmaak_f32 v9, s0, v5, 0xa2b236d3
	v_fmaak_f32 v10, v5, v9, 0x23056dbb
	v_add_nc_u32_e32 v14, -1, v15
	v_add_nc_u32_e32 v16, 1, v15
	v_add_f32_e32 v10, 0x244df0c1, v10
	v_fma_f32 v17, -v14, v15, v11
	v_fma_f32 v18, -v16, v15, v11
	v_fma_f32 v9, v5, v10, -v9
	v_cmp_ge_f32_e64 s0, 0, v17
	v_add_f32_e32 v9, 0x241f9ee8, v9
	v_cndmask_b32_e64 v14, v15, v14, s0
	v_cmp_lt_f32_e64 s0, 0, v18
	v_fma_f32 v10, v5, v9, -v10
	v_add_f32_e32 v10, 0xa5a3005d, v10
	v_fma_f32 v9, v5, v10, -v9
	v_add_f32_e32 v9, 0xa5c5773f, v9
	;; [unrolled: 2-line block ×20, first 2 shown]
	v_fma_f32 v5, v5, v9, -v10
	v_ldexp_f32 v9, v12, v13
	v_cndmask_b32_e64 v12, v14, v16, s0
	v_cmp_ngt_f32_e64 s0, 0xc2ce8ed0, |v6|
	v_add_f32_e32 v5, 0x3f4df315, v5
	v_mul_f32_e32 v13, 0x37800000, v12
	v_cndmask_b32_e64 v9, 0, v9, s0
	v_cmp_nlt_f32_e64 s0, 0x42b17218, |v6|
	v_sub_f32_e32 v5, v5, v10
	v_cndmask_b32_e64 v6, 0x7f800000, v9, s0
	v_cndmask_b32_e32 v9, v12, v13, vcc_lo
	v_mul_f32_e32 v5, 0.5, v5
	v_cmp_class_f32_e64 vcc_lo, v11, 0x260
	v_mul_f32_e32 v5, v6, v5
	v_cndmask_b32_e32 v9, v9, v11, vcc_lo
	v_div_scale_f32 v6, null, v9, v9, v5
	v_rcp_f32_e32 v10, v6
	v_fma_f32 v11, -v6, v10, 1.0
	v_fmac_f32_e32 v10, v11, v10
	v_div_scale_f32 v11, vcc_lo, v5, v9, v5
	v_mul_f32_e32 v12, v11, v10
	v_fma_f32 v13, -v6, v12, v11
	v_fmac_f32_e32 v12, v13, v10
	v_fma_f32 v6, -v6, v12, v11
	v_div_fmas_f32 v6, v6, v10, v12
	v_div_fixup_f32 v5, v6, v9, v5
.LBB16_80:
	s_or_b32 exec_lo, exec_lo, s1
	global_load_dword v7, v7, s[6:7]
                                        ; implicit-def: $vgpr6
	s_waitcnt vmcnt(0)
	v_cmp_ge_f32_e64 s0, 0x41000000, |v7|
	s_and_saveexec_b32 s1, s0
	s_xor_b32 s0, exec_lo, s1
	s_cbranch_execz .LBB16_82
; %bb.81:
	v_fma_f32 v6, |v7|, 0.5, -2.0
	s_mov_b32 s1, 0xa2a2e5b9
	v_mul_f32_e64 v11, 0x3fb8aa3b, |v7|
	v_cmp_ngt_f32_e64 vcc_lo, 0xc2ce8ed0, |v7|
	v_fmaak_f32 v9, s1, v6, 0x24199b15
	v_rndne_f32_e32 v12, v11
	v_fma_f32 v13, 0x3fb8aa3b, |v7|, -v11
	v_fmaak_f32 v10, v6, v9, 0x22a2e5b9
	v_sub_f32_e32 v11, v11, v12
	v_fma_f32 v13, 0x32a5705f, |v7|, v13
	v_cvt_i32_f32_e32 v12, v12
	v_add_f32_e32 v10, 0xa58c275c, v10
	v_add_f32_e32 v11, v11, v13
	v_fma_f32 v9, v6, v10, -v9
	v_exp_f32_e32 v11, v11
	v_add_f32_e32 v9, 0x26f736c5, v9
	v_fma_f32 v10, v6, v9, -v10
	v_add_f32_e32 v10, 0xa8528116, v10
	v_fma_f32 v9, v6, v10, -v9
	;; [unrolled: 2-line block ×26, first 2 shown]
	v_ldexp_f32 v10, v11, v12
	v_add_f32_e32 v6, 0x3f2d4275, v6
	v_cndmask_b32_e32 v10, 0, v10, vcc_lo
	v_cmp_nlt_f32_e64 vcc_lo, 0x42b17218, |v7|
	v_sub_f32_e32 v6, v6, v9
	v_cndmask_b32_e32 v7, 0x7f800000, v10, vcc_lo
	v_mul_f32_e32 v6, 0.5, v6
	v_mul_f32_e32 v6, v7, v6
                                        ; implicit-def: $vgpr7
.LBB16_82:
	s_andn2_saveexec_b32 s1, s0
	s_cbranch_execz .LBB16_84
; %bb.83:
	v_and_b32_e32 v6, 0x7fffffff, v7
	s_mov_b32 s0, 0xa3056dbb
	v_div_scale_f32 v9, null, v6, v6, 0x42000000
	v_div_scale_f32 v6, vcc_lo, 0x42000000, v6, 0x42000000
	v_rcp_f32_e32 v10, v9
	v_fma_f32 v11, -v9, v10, 1.0
	v_fmac_f32_e32 v10, v11, v10
	v_mul_f32_e32 v11, v6, v10
	v_fma_f32 v12, -v9, v11, v6
	v_fmac_f32_e32 v11, v12, v10
	v_mul_f32_e64 v12, 0x3fb8aa3b, |v7|
	v_fma_f32 v6, -v9, v11, v6
	v_rndne_f32_e32 v13, v12
	v_fma_f32 v14, 0x3fb8aa3b, |v7|, -v12
	v_div_fmas_f32 v6, v6, v10, v11
	v_mul_f32_e64 v11, 0x4f800000, |v7|
	v_cmp_gt_f32_e64 vcc_lo, 0xf800000, |v7|
	v_sub_f32_e32 v12, v12, v13
	v_fma_f32 v14, 0x32a5705f, |v7|, v14
	v_div_fixup_f32 v6, v6, |v7|, 0x42000000
	v_cvt_i32_f32_e32 v13, v13
	v_cndmask_b32_e64 v11, |v7|, v11, vcc_lo
	v_add_f32_e32 v12, v12, v14
	v_add_f32_e32 v6, -2.0, v6
	v_sqrt_f32_e32 v15, v11
	v_exp_f32_e32 v12, v12
	v_fmaak_f32 v9, s0, v6, 0xa2b236d3
	v_fmaak_f32 v10, v6, v9, 0x23056dbb
	v_add_nc_u32_e32 v14, -1, v15
	v_add_nc_u32_e32 v16, 1, v15
	v_add_f32_e32 v10, 0x244df0c1, v10
	v_fma_f32 v17, -v14, v15, v11
	v_fma_f32 v18, -v16, v15, v11
	v_fma_f32 v9, v6, v10, -v9
	v_cmp_ge_f32_e64 s0, 0, v17
	v_add_f32_e32 v9, 0x241f9ee8, v9
	v_cndmask_b32_e64 v14, v15, v14, s0
	v_cmp_lt_f32_e64 s0, 0, v18
	v_fma_f32 v10, v6, v9, -v10
	v_add_f32_e32 v10, 0xa5a3005d, v10
	v_fma_f32 v9, v6, v10, -v9
	v_add_f32_e32 v9, 0xa5c5773f, v9
	;; [unrolled: 2-line block ×20, first 2 shown]
	v_fma_f32 v6, v6, v9, -v10
	v_ldexp_f32 v9, v12, v13
	v_cndmask_b32_e64 v12, v14, v16, s0
	v_cmp_ngt_f32_e64 s0, 0xc2ce8ed0, |v7|
	v_add_f32_e32 v6, 0x3f4df315, v6
	v_mul_f32_e32 v13, 0x37800000, v12
	v_cndmask_b32_e64 v9, 0, v9, s0
	v_cmp_nlt_f32_e64 s0, 0x42b17218, |v7|
	v_sub_f32_e32 v6, v6, v10
	v_cndmask_b32_e64 v7, 0x7f800000, v9, s0
	v_cndmask_b32_e32 v9, v12, v13, vcc_lo
	v_mul_f32_e32 v6, 0.5, v6
	v_cmp_class_f32_e64 vcc_lo, v11, 0x260
	v_mul_f32_e32 v6, v7, v6
	v_cndmask_b32_e32 v9, v9, v11, vcc_lo
	v_div_scale_f32 v7, null, v9, v9, v6
	v_rcp_f32_e32 v10, v7
	v_fma_f32 v11, -v7, v10, 1.0
	v_fmac_f32_e32 v10, v11, v10
	v_div_scale_f32 v11, vcc_lo, v6, v9, v6
	v_mul_f32_e32 v12, v11, v10
	v_fma_f32 v13, -v7, v12, v11
	v_fmac_f32_e32 v12, v13, v10
	v_fma_f32 v7, -v7, v12, v11
	v_div_fmas_f32 v7, v7, v10, v12
	v_div_fixup_f32 v6, v7, v9, v6
.LBB16_84:
	s_or_b32 exec_lo, exec_lo, s1
	global_load_dword v7, v8, s[6:7]
                                        ; implicit-def: $vgpr8
	s_waitcnt vmcnt(0)
	v_cmp_ge_f32_e64 s0, 0x41000000, |v7|
	s_and_saveexec_b32 s1, s0
	s_xor_b32 s0, exec_lo, s1
	s_cbranch_execz .LBB16_86
; %bb.85:
	v_fma_f32 v8, |v7|, 0.5, -2.0
	s_mov_b32 s1, 0xa2a2e5b9
	v_mul_f32_e64 v11, 0x3fb8aa3b, |v7|
	v_cmp_ngt_f32_e64 vcc_lo, 0xc2ce8ed0, |v7|
	v_fmaak_f32 v9, s1, v8, 0x24199b15
	v_rndne_f32_e32 v12, v11
	v_fma_f32 v13, 0x3fb8aa3b, |v7|, -v11
	v_fmaak_f32 v10, v8, v9, 0x22a2e5b9
	v_sub_f32_e32 v11, v11, v12
	v_fma_f32 v13, 0x32a5705f, |v7|, v13
	v_cvt_i32_f32_e32 v12, v12
	v_add_f32_e32 v10, 0xa58c275c, v10
	v_add_f32_e32 v11, v11, v13
	v_fma_f32 v9, v8, v10, -v9
	v_exp_f32_e32 v11, v11
	v_add_f32_e32 v9, 0x26f736c5, v9
	v_fma_f32 v10, v8, v9, -v10
	v_add_f32_e32 v10, 0xa8528116, v10
	v_fma_f32 v9, v8, v10, -v9
	;; [unrolled: 2-line block ×26, first 2 shown]
	v_ldexp_f32 v10, v11, v12
	v_add_f32_e32 v8, 0x3f2d4275, v8
	v_cndmask_b32_e32 v10, 0, v10, vcc_lo
	v_cmp_nlt_f32_e64 vcc_lo, 0x42b17218, |v7|
	v_sub_f32_e32 v8, v8, v9
	v_cndmask_b32_e32 v7, 0x7f800000, v10, vcc_lo
	v_mul_f32_e32 v8, 0.5, v8
	v_mul_f32_e32 v8, v7, v8
                                        ; implicit-def: $vgpr7
.LBB16_86:
	s_andn2_saveexec_b32 s1, s0
	s_cbranch_execz .LBB16_88
; %bb.87:
	v_and_b32_e32 v8, 0x7fffffff, v7
	s_mov_b32 s0, 0xa3056dbb
	v_div_scale_f32 v9, null, v8, v8, 0x42000000
	v_div_scale_f32 v8, vcc_lo, 0x42000000, v8, 0x42000000
	v_rcp_f32_e32 v10, v9
	v_fma_f32 v11, -v9, v10, 1.0
	v_fmac_f32_e32 v10, v11, v10
	v_mul_f32_e32 v11, v8, v10
	v_fma_f32 v12, -v9, v11, v8
	v_fmac_f32_e32 v11, v12, v10
	v_mul_f32_e64 v12, 0x3fb8aa3b, |v7|
	v_fma_f32 v8, -v9, v11, v8
	v_rndne_f32_e32 v13, v12
	v_fma_f32 v14, 0x3fb8aa3b, |v7|, -v12
	v_div_fmas_f32 v8, v8, v10, v11
	v_mul_f32_e64 v11, 0x4f800000, |v7|
	v_cmp_gt_f32_e64 vcc_lo, 0xf800000, |v7|
	v_sub_f32_e32 v12, v12, v13
	v_fma_f32 v14, 0x32a5705f, |v7|, v14
	v_div_fixup_f32 v8, v8, |v7|, 0x42000000
	v_cvt_i32_f32_e32 v13, v13
	v_cndmask_b32_e64 v11, |v7|, v11, vcc_lo
	v_add_f32_e32 v12, v12, v14
	v_add_f32_e32 v8, -2.0, v8
	v_sqrt_f32_e32 v15, v11
	v_exp_f32_e32 v12, v12
	v_fmaak_f32 v9, s0, v8, 0xa2b236d3
	v_fmaak_f32 v10, v8, v9, 0x23056dbb
	v_add_nc_u32_e32 v14, -1, v15
	v_add_nc_u32_e32 v16, 1, v15
	v_add_f32_e32 v10, 0x244df0c1, v10
	v_fma_f32 v17, -v14, v15, v11
	v_fma_f32 v18, -v16, v15, v11
	v_fma_f32 v9, v8, v10, -v9
	v_cmp_ge_f32_e64 s0, 0, v17
	v_add_f32_e32 v9, 0x241f9ee8, v9
	v_cndmask_b32_e64 v14, v15, v14, s0
	v_cmp_lt_f32_e64 s0, 0, v18
	v_fma_f32 v10, v8, v9, -v10
	v_add_f32_e32 v10, 0xa5a3005d, v10
	v_fma_f32 v9, v8, v10, -v9
	v_add_f32_e32 v9, 0xa5c5773f, v9
	;; [unrolled: 2-line block ×20, first 2 shown]
	v_fma_f32 v8, v8, v9, -v10
	v_ldexp_f32 v9, v12, v13
	v_cndmask_b32_e64 v12, v14, v16, s0
	v_cmp_ngt_f32_e64 s0, 0xc2ce8ed0, |v7|
	v_add_f32_e32 v8, 0x3f4df315, v8
	v_mul_f32_e32 v13, 0x37800000, v12
	v_cndmask_b32_e64 v9, 0, v9, s0
	v_cmp_nlt_f32_e64 s0, 0x42b17218, |v7|
	v_sub_f32_e32 v8, v8, v10
	v_cndmask_b32_e64 v7, 0x7f800000, v9, s0
	v_cndmask_b32_e32 v9, v12, v13, vcc_lo
	v_mul_f32_e32 v8, 0.5, v8
	v_cmp_class_f32_e64 vcc_lo, v11, 0x260
	v_mul_f32_e32 v7, v7, v8
	v_cndmask_b32_e32 v9, v9, v11, vcc_lo
	v_div_scale_f32 v8, null, v9, v9, v7
	v_rcp_f32_e32 v10, v8
	v_fma_f32 v11, -v8, v10, 1.0
	v_fmac_f32_e32 v10, v11, v10
	v_div_scale_f32 v11, vcc_lo, v7, v9, v7
	v_mul_f32_e32 v12, v11, v10
	v_fma_f32 v13, -v8, v12, v11
	v_fmac_f32_e32 v12, v13, v10
	v_fma_f32 v8, -v8, v12, v11
	v_div_fmas_f32 v8, v8, v10, v12
	v_div_fixup_f32 v8, v8, v9, v7
.LBB16_88:
	s_or_b32 exec_lo, exec_lo, s1
	global_store_dword v0, v4, s[4:5]
	global_store_dword v1, v5, s[4:5]
	;; [unrolled: 1-line block ×4, first 2 shown]
	s_endpgm
.LBB16_89:
	v_mov_b32_e32 v0, 0
	v_mov_b32_e32 v2, 0
	s_branch .LBB16_95
.LBB16_90:
	v_mov_b32_e32 v0, 0
	v_mov_b32_e32 v2, 0
	s_branch .LBB16_115
.LBB16_91:
	v_mov_b32_e32 v0, 0
	v_mov_b32_e32 v2, 0
	;; [unrolled: 1-line block ×3, first 2 shown]
	s_mov_b32 s31, 0
.LBB16_92:
	s_and_b32 s33, s33, 3
	s_cmp_eq_u32 s33, 0
	s_cbranch_scc1 .LBB16_95
; %bb.93:
	s_lshl_b32 s0, s31, 3
	s_mul_i32 s20, s31, 12
	s_add_u32 s0, s2, s0
	s_addc_u32 s1, s3, 0
	s_add_u32 s0, s0, 0xc4
	s_addc_u32 s1, s1, 0
	;; [unrolled: 2-line block ×3, first 2 shown]
	.p2align	6
.LBB16_94:                              ; =>This Inner Loop Header: Depth=1
	s_clause 0x1
	s_load_dwordx2 s[34:35], s[20:21], 0x4
	s_load_dword s31, s[20:21], 0xc
	s_load_dwordx2 s[36:37], s[0:1], 0x0
	s_add_u32 s20, s20, 12
	s_addc_u32 s21, s21, 0
	s_add_u32 s0, s0, 8
	s_addc_u32 s1, s1, 0
	s_add_i32 s33, s33, -1
	s_cmp_lg_u32 s33, 0
	s_waitcnt lgkmcnt(0)
	v_mul_hi_u32 v3, s35, v1
	v_add_nc_u32_e32 v3, v1, v3
	v_lshrrev_b32_e32 v5, s31, v3
	v_mul_lo_u32 v3, v5, s34
	v_sub_nc_u32_e32 v3, v1, v3
	v_mad_u64_u32 v[0:1], null, v3, s36, v[0:1]
	v_mad_u64_u32 v[2:3], null, v3, s37, v[2:3]
	v_mov_b32_e32 v1, v5
	s_cbranch_scc1 .LBB16_94
.LBB16_95:
	s_cbranch_execnz .LBB16_98
.LBB16_96:
	s_waitcnt lgkmcnt(0)
	v_mul_hi_u32 v0, s13, v4
	s_andn2_b32 vcc_lo, exec_lo, s26
	v_add_nc_u32_e32 v0, v4, v0
	v_lshrrev_b32_e32 v1, s14, v0
	v_mul_lo_u32 v0, v1, s12
	v_sub_nc_u32_e32 v2, v4, v0
	v_mul_lo_u32 v0, v2, s8
	v_mul_lo_u32 v2, v2, s9
	s_cbranch_vccnz .LBB16_98
; %bb.97:
	v_mul_hi_u32 v3, s16, v1
	v_add_nc_u32_e32 v3, v1, v3
	v_lshrrev_b32_e32 v3, s17, v3
	v_mul_lo_u32 v3, v3, s15
	v_sub_nc_u32_e32 v3, v1, v3
	v_mad_u64_u32 v[0:1], null, v3, s10, v[0:1]
	v_mad_u64_u32 v[2:3], null, v3, s11, v[2:3]
.LBB16_98:
	s_waitcnt lgkmcnt(0)
	global_load_dword v1, v2, s[6:7]
                                        ; implicit-def: $vgpr3
	s_waitcnt vmcnt(0)
	v_cmp_ge_f32_e64 s0, 0x41000000, |v1|
	v_mul_f32_e64 v2, 0x3fb8aa3b, |v1|
	s_and_saveexec_b32 s1, s0
	s_xor_b32 s0, exec_lo, s1
	s_cbranch_execz .LBB16_100
; %bb.99:
	v_fma_f32 v3, |v1|, 0.5, -2.0
	s_mov_b32 s1, 0xa2a2e5b9
	v_rndne_f32_e32 v7, v2
	v_fma_f32 v8, 0x3fb8aa3b, |v1|, -v2
	v_cmp_ngt_f32_e64 vcc_lo, 0xc2ce8ed0, |v1|
	v_fmaak_f32 v5, s1, v3, 0x24199b15
	v_sub_f32_e32 v2, v2, v7
	v_fma_f32 v8, 0x32a5705f, |v1|, v8
	v_cvt_i32_f32_e32 v7, v7
	v_fmaak_f32 v6, v3, v5, 0x22a2e5b9
	v_add_f32_e32 v2, v2, v8
	v_add_f32_e32 v6, 0xa58c275c, v6
	v_exp_f32_e32 v2, v2
	v_fma_f32 v5, v3, v6, -v5
	v_add_f32_e32 v5, 0x26f736c5, v5
	v_ldexp_f32 v2, v2, v7
	v_fma_f32 v6, v3, v5, -v6
	v_cndmask_b32_e32 v2, 0, v2, vcc_lo
	v_cmp_nlt_f32_e64 vcc_lo, 0x42b17218, |v1|
	v_add_f32_e32 v6, 0xa8528116, v6
	v_cndmask_b32_e32 v1, 0x7f800000, v2, vcc_lo
	v_fma_f32 v5, v3, v6, -v5
	v_add_f32_e32 v5, 0x29acda32, v5
	v_fma_f32 v6, v3, v5, -v6
	v_add_f32_e32 v6, 0xab08b263, v6
	;; [unrolled: 2-line block ×25, first 2 shown]
	v_sub_f32_e32 v3, v3, v5
	v_mul_f32_e32 v2, 0.5, v3
	v_mul_f32_e32 v3, v1, v2
                                        ; implicit-def: $vgpr1
                                        ; implicit-def: $vgpr2
.LBB16_100:
	s_andn2_saveexec_b32 s1, s0
	s_cbranch_execz .LBB16_102
; %bb.101:
	v_and_b32_e32 v3, 0x7fffffff, v1
	s_mov_b32 s0, 0xa3056dbb
	v_fma_f32 v9, 0x3fb8aa3b, |v1|, -v2
	v_div_scale_f32 v5, null, v3, v3, 0x42000000
	v_div_scale_f32 v3, vcc_lo, 0x42000000, v3, 0x42000000
	v_fma_f32 v9, 0x32a5705f, |v1|, v9
	v_rcp_f32_e32 v6, v5
	v_fma_f32 v7, -v5, v6, 1.0
	v_fmac_f32_e32 v6, v7, v6
	v_mul_f32_e32 v7, v3, v6
	v_fma_f32 v8, -v5, v7, v3
	v_fmac_f32_e32 v7, v8, v6
	v_rndne_f32_e32 v8, v2
	v_fma_f32 v3, -v5, v7, v3
	v_sub_f32_e32 v2, v2, v8
	v_cvt_i32_f32_e32 v8, v8
	v_div_fmas_f32 v3, v3, v6, v7
	v_mul_f32_e64 v7, 0x4f800000, |v1|
	v_cmp_gt_f32_e64 vcc_lo, 0xf800000, |v1|
	v_add_f32_e32 v2, v2, v9
	v_div_fixup_f32 v3, v3, |v1|, 0x42000000
	v_cndmask_b32_e64 v7, |v1|, v7, vcc_lo
	v_exp_f32_e32 v2, v2
	v_add_f32_e32 v3, -2.0, v3
	v_sqrt_f32_e32 v10, v7
	v_fmaak_f32 v5, s0, v3, 0xa2b236d3
	v_ldexp_f32 v2, v2, v8
	v_fmaak_f32 v6, v3, v5, 0x23056dbb
	v_add_nc_u32_e32 v9, -1, v10
	v_add_nc_u32_e32 v11, 1, v10
	v_add_f32_e32 v6, 0x244df0c1, v6
	v_fma_f32 v12, -v9, v10, v7
	v_fma_f32 v13, -v11, v10, v7
	v_fma_f32 v5, v3, v6, -v5
	v_cmp_ge_f32_e64 s0, 0, v12
	v_add_f32_e32 v5, 0x241f9ee8, v5
	v_cndmask_b32_e64 v9, v10, v9, s0
	v_cmp_lt_f32_e64 s0, 0, v13
	v_fma_f32 v6, v3, v5, -v6
	v_add_f32_e32 v6, 0xa5a3005d, v6
	v_fma_f32 v5, v3, v6, -v5
	v_add_f32_e32 v5, 0xa5c5773f, v5
	;; [unrolled: 2-line block ×20, first 2 shown]
	v_fma_f32 v3, v3, v5, -v6
	v_cndmask_b32_e64 v5, v9, v11, s0
	v_cmp_ngt_f32_e64 s0, 0xc2ce8ed0, |v1|
	v_add_f32_e32 v3, 0x3f4df315, v3
	v_mul_f32_e32 v8, 0x37800000, v5
	v_cndmask_b32_e64 v2, 0, v2, s0
	v_cmp_nlt_f32_e64 s0, 0x42b17218, |v1|
	v_sub_f32_e32 v3, v3, v6
	v_cndmask_b32_e64 v1, 0x7f800000, v2, s0
	v_cndmask_b32_e32 v2, v5, v8, vcc_lo
	v_mul_f32_e32 v3, 0.5, v3
	v_cmp_class_f32_e64 vcc_lo, v7, 0x260
	v_mul_f32_e32 v1, v1, v3
	v_cndmask_b32_e32 v2, v2, v7, vcc_lo
	v_div_scale_f32 v3, null, v2, v2, v1
	v_rcp_f32_e32 v5, v3
	v_fma_f32 v6, -v3, v5, 1.0
	v_fmac_f32_e32 v5, v6, v5
	v_div_scale_f32 v6, vcc_lo, v1, v2, v1
	v_mul_f32_e32 v7, v6, v5
	v_fma_f32 v8, -v3, v7, v6
	v_fmac_f32_e32 v7, v8, v5
	v_fma_f32 v3, -v3, v7, v6
	v_div_fmas_f32 v3, v3, v5, v7
	v_div_fixup_f32 v3, v3, v2, v1
.LBB16_102:
	s_or_b32 exec_lo, exec_lo, s1
	v_add_nc_u32_e32 v4, 0x80, v4
	global_store_dword v0, v3, s[4:5]
	s_or_b32 exec_lo, exec_lo, s30
	s_mov_b32 s30, exec_lo
	v_cmpx_gt_i32_e64 s27, v4
	s_cbranch_execnz .LBB16_15
.LBB16_103:
	s_or_b32 exec_lo, exec_lo, s30
	s_mov_b32 s30, exec_lo
	v_cmpx_gt_i32_e64 s27, v4
	s_cbranch_execz .LBB16_123
.LBB16_104:
	s_andn2_b32 vcc_lo, exec_lo, s24
	s_cbranch_vccnz .LBB16_109
; %bb.105:
	s_andn2_b32 vcc_lo, exec_lo, s29
	s_cbranch_vccnz .LBB16_110
; %bb.106:
	s_add_i32 s33, s28, 1
	s_cmp_eq_u32 s23, 2
	s_cbranch_scc1 .LBB16_126
; %bb.107:
	v_mov_b32_e32 v2, 0
	v_mov_b32_e32 v0, 0
	;; [unrolled: 1-line block ×3, first 2 shown]
	s_and_b32 s31, s33, 28
	s_mov_b32 s34, 0
	s_mov_b64 s[0:1], s[2:3]
	s_mov_b64 s[20:21], s[18:19]
.LBB16_108:                             ; =>This Inner Loop Header: Depth=1
	s_clause 0x1
	s_load_dwordx8 s[36:43], s[0:1], 0x4
	s_load_dwordx4 s[52:55], s[0:1], 0x24
	s_load_dwordx8 s[44:51], s[20:21], 0x0
	s_add_u32 s0, s0, 48
	s_addc_u32 s1, s1, 0
	s_add_i32 s34, s34, 4
	s_add_u32 s20, s20, 32
	s_addc_u32 s21, s21, 0
	s_cmp_eq_u32 s31, s34
	s_waitcnt lgkmcnt(0)
	v_mul_hi_u32 v3, s37, v1
	v_add_nc_u32_e32 v3, v1, v3
	v_lshrrev_b32_e32 v3, s38, v3
	v_mul_hi_u32 v5, s40, v3
	v_mul_lo_u32 v7, v3, s36
	v_add_nc_u32_e32 v5, v3, v5
	v_sub_nc_u32_e32 v1, v1, v7
	v_lshrrev_b32_e32 v5, s41, v5
	v_mul_lo_u32 v7, v1, s44
	v_mul_lo_u32 v9, v1, s45
	v_mul_hi_u32 v6, s43, v5
	v_add_nc_u32_e32 v6, v5, v6
	v_lshrrev_b32_e32 v6, s52, v6
	v_mul_hi_u32 v8, s54, v6
	v_mul_lo_u32 v10, v6, s42
	v_add_nc_u32_e32 v1, v6, v8
	v_mul_lo_u32 v8, v5, s39
	v_sub_nc_u32_e32 v5, v5, v10
	v_lshrrev_b32_e32 v1, s55, v1
	v_mul_lo_u32 v10, v5, s48
	v_mul_lo_u32 v5, v5, s49
	v_sub_nc_u32_e32 v3, v3, v8
	v_mul_lo_u32 v11, v1, s53
	v_mul_lo_u32 v8, v3, s46
	;; [unrolled: 1-line block ×3, first 2 shown]
	v_sub_nc_u32_e32 v6, v6, v11
	v_add3_u32 v0, v7, v0, v8
	v_mul_lo_u32 v11, v6, s50
	v_mul_lo_u32 v6, v6, s51
	v_add3_u32 v2, v9, v2, v3
	v_add3_u32 v0, v10, v0, v11
	v_add3_u32 v2, v5, v2, v6
	s_cbranch_scc0 .LBB16_108
	s_branch .LBB16_127
.LBB16_109:
                                        ; implicit-def: $vgpr0
                                        ; implicit-def: $vgpr2
	s_branch .LBB16_131
.LBB16_110:
	v_mov_b32_e32 v0, 0
	v_mov_b32_e32 v2, 0
	s_branch .LBB16_130
.LBB16_111:
	v_mov_b32_e32 v0, 0
	v_mov_b32_e32 v2, 0
	;; [unrolled: 1-line block ×3, first 2 shown]
	s_mov_b32 s31, 0
.LBB16_112:
	s_and_b32 s33, s33, 3
	s_cmp_eq_u32 s33, 0
	s_cbranch_scc1 .LBB16_115
; %bb.113:
	s_lshl_b32 s0, s31, 3
	s_mul_i32 s20, s31, 12
	s_add_u32 s0, s2, s0
	s_addc_u32 s1, s3, 0
	s_add_u32 s0, s0, 0xc4
	s_addc_u32 s1, s1, 0
	;; [unrolled: 2-line block ×3, first 2 shown]
	.p2align	6
.LBB16_114:                             ; =>This Inner Loop Header: Depth=1
	s_clause 0x1
	s_load_dwordx2 s[34:35], s[20:21], 0x4
	s_load_dword s31, s[20:21], 0xc
	s_load_dwordx2 s[36:37], s[0:1], 0x0
	s_add_u32 s20, s20, 12
	s_addc_u32 s21, s21, 0
	s_add_u32 s0, s0, 8
	s_addc_u32 s1, s1, 0
	s_add_i32 s33, s33, -1
	s_cmp_lg_u32 s33, 0
	s_waitcnt lgkmcnt(0)
	v_mul_hi_u32 v3, s35, v1
	v_add_nc_u32_e32 v3, v1, v3
	v_lshrrev_b32_e32 v5, s31, v3
	v_mul_lo_u32 v3, v5, s34
	v_sub_nc_u32_e32 v3, v1, v3
	v_mad_u64_u32 v[0:1], null, v3, s36, v[0:1]
	v_mad_u64_u32 v[2:3], null, v3, s37, v[2:3]
	v_mov_b32_e32 v1, v5
	s_cbranch_scc1 .LBB16_114
.LBB16_115:
	s_cbranch_execnz .LBB16_118
.LBB16_116:
	s_waitcnt lgkmcnt(0)
	v_mul_hi_u32 v0, s13, v4
	s_andn2_b32 vcc_lo, exec_lo, s26
	v_add_nc_u32_e32 v0, v4, v0
	v_lshrrev_b32_e32 v1, s14, v0
	v_mul_lo_u32 v0, v1, s12
	v_sub_nc_u32_e32 v2, v4, v0
	v_mul_lo_u32 v0, v2, s8
	v_mul_lo_u32 v2, v2, s9
	s_cbranch_vccnz .LBB16_118
; %bb.117:
	v_mul_hi_u32 v3, s16, v1
	v_add_nc_u32_e32 v3, v1, v3
	v_lshrrev_b32_e32 v3, s17, v3
	v_mul_lo_u32 v3, v3, s15
	v_sub_nc_u32_e32 v3, v1, v3
	v_mad_u64_u32 v[0:1], null, v3, s10, v[0:1]
	v_mad_u64_u32 v[2:3], null, v3, s11, v[2:3]
.LBB16_118:
	s_waitcnt lgkmcnt(0)
	global_load_dword v1, v2, s[6:7]
                                        ; implicit-def: $vgpr3
	s_waitcnt vmcnt(0)
	v_cmp_ge_f32_e64 s0, 0x41000000, |v1|
	v_mul_f32_e64 v2, 0x3fb8aa3b, |v1|
	s_and_saveexec_b32 s1, s0
	s_xor_b32 s0, exec_lo, s1
	s_cbranch_execz .LBB16_120
; %bb.119:
	v_fma_f32 v3, |v1|, 0.5, -2.0
	s_mov_b32 s1, 0xa2a2e5b9
	v_rndne_f32_e32 v7, v2
	v_fma_f32 v8, 0x3fb8aa3b, |v1|, -v2
	v_cmp_ngt_f32_e64 vcc_lo, 0xc2ce8ed0, |v1|
	v_fmaak_f32 v5, s1, v3, 0x24199b15
	v_sub_f32_e32 v2, v2, v7
	v_fma_f32 v8, 0x32a5705f, |v1|, v8
	v_cvt_i32_f32_e32 v7, v7
	v_fmaak_f32 v6, v3, v5, 0x22a2e5b9
	v_add_f32_e32 v2, v2, v8
	v_add_f32_e32 v6, 0xa58c275c, v6
	v_exp_f32_e32 v2, v2
	v_fma_f32 v5, v3, v6, -v5
	v_add_f32_e32 v5, 0x26f736c5, v5
	v_ldexp_f32 v2, v2, v7
	v_fma_f32 v6, v3, v5, -v6
	v_cndmask_b32_e32 v2, 0, v2, vcc_lo
	v_cmp_nlt_f32_e64 vcc_lo, 0x42b17218, |v1|
	v_add_f32_e32 v6, 0xa8528116, v6
	v_cndmask_b32_e32 v1, 0x7f800000, v2, vcc_lo
	v_fma_f32 v5, v3, v6, -v5
	v_add_f32_e32 v5, 0x29acda32, v5
	v_fma_f32 v6, v3, v5, -v6
	v_add_f32_e32 v6, 0xab08b263, v6
	;; [unrolled: 2-line block ×25, first 2 shown]
	v_sub_f32_e32 v3, v3, v5
	v_mul_f32_e32 v2, 0.5, v3
	v_mul_f32_e32 v3, v1, v2
                                        ; implicit-def: $vgpr1
                                        ; implicit-def: $vgpr2
.LBB16_120:
	s_andn2_saveexec_b32 s1, s0
	s_cbranch_execz .LBB16_122
; %bb.121:
	v_and_b32_e32 v3, 0x7fffffff, v1
	s_mov_b32 s0, 0xa3056dbb
	v_fma_f32 v9, 0x3fb8aa3b, |v1|, -v2
	v_div_scale_f32 v5, null, v3, v3, 0x42000000
	v_div_scale_f32 v3, vcc_lo, 0x42000000, v3, 0x42000000
	v_fma_f32 v9, 0x32a5705f, |v1|, v9
	v_rcp_f32_e32 v6, v5
	v_fma_f32 v7, -v5, v6, 1.0
	v_fmac_f32_e32 v6, v7, v6
	v_mul_f32_e32 v7, v3, v6
	v_fma_f32 v8, -v5, v7, v3
	v_fmac_f32_e32 v7, v8, v6
	v_rndne_f32_e32 v8, v2
	v_fma_f32 v3, -v5, v7, v3
	v_sub_f32_e32 v2, v2, v8
	v_cvt_i32_f32_e32 v8, v8
	v_div_fmas_f32 v3, v3, v6, v7
	v_mul_f32_e64 v7, 0x4f800000, |v1|
	v_cmp_gt_f32_e64 vcc_lo, 0xf800000, |v1|
	v_add_f32_e32 v2, v2, v9
	v_div_fixup_f32 v3, v3, |v1|, 0x42000000
	v_cndmask_b32_e64 v7, |v1|, v7, vcc_lo
	v_exp_f32_e32 v2, v2
	v_add_f32_e32 v3, -2.0, v3
	v_sqrt_f32_e32 v10, v7
	v_fmaak_f32 v5, s0, v3, 0xa2b236d3
	v_ldexp_f32 v2, v2, v8
	v_fmaak_f32 v6, v3, v5, 0x23056dbb
	v_add_nc_u32_e32 v9, -1, v10
	v_add_nc_u32_e32 v11, 1, v10
	v_add_f32_e32 v6, 0x244df0c1, v6
	v_fma_f32 v12, -v9, v10, v7
	v_fma_f32 v13, -v11, v10, v7
	v_fma_f32 v5, v3, v6, -v5
	v_cmp_ge_f32_e64 s0, 0, v12
	v_add_f32_e32 v5, 0x241f9ee8, v5
	v_cndmask_b32_e64 v9, v10, v9, s0
	v_cmp_lt_f32_e64 s0, 0, v13
	v_fma_f32 v6, v3, v5, -v6
	v_add_f32_e32 v6, 0xa5a3005d, v6
	v_fma_f32 v5, v3, v6, -v5
	v_add_f32_e32 v5, 0xa5c5773f, v5
	;; [unrolled: 2-line block ×20, first 2 shown]
	v_fma_f32 v3, v3, v5, -v6
	v_cndmask_b32_e64 v5, v9, v11, s0
	v_cmp_ngt_f32_e64 s0, 0xc2ce8ed0, |v1|
	v_add_f32_e32 v3, 0x3f4df315, v3
	v_mul_f32_e32 v8, 0x37800000, v5
	v_cndmask_b32_e64 v2, 0, v2, s0
	v_cmp_nlt_f32_e64 s0, 0x42b17218, |v1|
	v_sub_f32_e32 v3, v3, v6
	v_cndmask_b32_e64 v1, 0x7f800000, v2, s0
	v_cndmask_b32_e32 v2, v5, v8, vcc_lo
	v_mul_f32_e32 v3, 0.5, v3
	v_cmp_class_f32_e64 vcc_lo, v7, 0x260
	v_mul_f32_e32 v1, v1, v3
	v_cndmask_b32_e32 v2, v2, v7, vcc_lo
	v_div_scale_f32 v3, null, v2, v2, v1
	v_rcp_f32_e32 v5, v3
	v_fma_f32 v6, -v3, v5, 1.0
	v_fmac_f32_e32 v5, v6, v5
	v_div_scale_f32 v6, vcc_lo, v1, v2, v1
	v_mul_f32_e32 v7, v6, v5
	v_fma_f32 v8, -v3, v7, v6
	v_fmac_f32_e32 v7, v8, v5
	v_fma_f32 v3, -v3, v7, v6
	v_div_fmas_f32 v3, v3, v5, v7
	v_div_fixup_f32 v3, v3, v2, v1
.LBB16_122:
	s_or_b32 exec_lo, exec_lo, s1
	v_add_nc_u32_e32 v4, 0x80, v4
	global_store_dword v0, v3, s[4:5]
	s_or_b32 exec_lo, exec_lo, s30
	s_mov_b32 s30, exec_lo
	v_cmpx_gt_i32_e64 s27, v4
	s_cbranch_execnz .LBB16_104
.LBB16_123:
	s_or_b32 exec_lo, exec_lo, s30
	s_mov_b32 s20, exec_lo
	v_cmpx_gt_i32_e64 s27, v4
	s_cbranch_execnz .LBB16_138
.LBB16_124:
	s_or_b32 exec_lo, exec_lo, s20
                                        ; implicit-def: $vgpr10
                                        ; implicit-def: $vgpr4
	s_andn2_saveexec_b32 s0, s25
	s_cbranch_execnz .LBB16_8
.LBB16_125:
	s_endpgm
.LBB16_126:
	v_mov_b32_e32 v0, 0
	v_mov_b32_e32 v2, 0
	;; [unrolled: 1-line block ×3, first 2 shown]
	s_mov_b32 s31, 0
.LBB16_127:
	s_and_b32 s33, s33, 3
	s_cmp_eq_u32 s33, 0
	s_cbranch_scc1 .LBB16_130
; %bb.128:
	s_lshl_b32 s0, s31, 3
	s_mul_i32 s20, s31, 12
	s_add_u32 s0, s2, s0
	s_addc_u32 s1, s3, 0
	s_add_u32 s0, s0, 0xc4
	s_addc_u32 s1, s1, 0
	s_add_u32 s20, s2, s20
	s_addc_u32 s21, s3, 0
	.p2align	6
.LBB16_129:                             ; =>This Inner Loop Header: Depth=1
	s_clause 0x1
	s_load_dwordx2 s[34:35], s[20:21], 0x4
	s_load_dword s31, s[20:21], 0xc
	s_load_dwordx2 s[36:37], s[0:1], 0x0
	s_add_u32 s20, s20, 12
	s_addc_u32 s21, s21, 0
	s_add_u32 s0, s0, 8
	s_addc_u32 s1, s1, 0
	s_add_i32 s33, s33, -1
	s_cmp_lg_u32 s33, 0
	s_waitcnt lgkmcnt(0)
	v_mul_hi_u32 v3, s35, v1
	v_add_nc_u32_e32 v3, v1, v3
	v_lshrrev_b32_e32 v5, s31, v3
	v_mul_lo_u32 v3, v5, s34
	v_sub_nc_u32_e32 v3, v1, v3
	v_mad_u64_u32 v[0:1], null, v3, s36, v[0:1]
	v_mad_u64_u32 v[2:3], null, v3, s37, v[2:3]
	v_mov_b32_e32 v1, v5
	s_cbranch_scc1 .LBB16_129
.LBB16_130:
	s_cbranch_execnz .LBB16_133
.LBB16_131:
	s_waitcnt lgkmcnt(0)
	v_mul_hi_u32 v0, s13, v4
	s_andn2_b32 vcc_lo, exec_lo, s26
	v_add_nc_u32_e32 v0, v4, v0
	v_lshrrev_b32_e32 v1, s14, v0
	v_mul_lo_u32 v0, v1, s12
	v_sub_nc_u32_e32 v2, v4, v0
	v_mul_lo_u32 v0, v2, s8
	v_mul_lo_u32 v2, v2, s9
	s_cbranch_vccnz .LBB16_133
; %bb.132:
	v_mul_hi_u32 v3, s16, v1
	v_add_nc_u32_e32 v3, v1, v3
	v_lshrrev_b32_e32 v3, s17, v3
	v_mul_lo_u32 v3, v3, s15
	v_sub_nc_u32_e32 v3, v1, v3
	v_mad_u64_u32 v[0:1], null, v3, s10, v[0:1]
	v_mad_u64_u32 v[2:3], null, v3, s11, v[2:3]
.LBB16_133:
	s_waitcnt lgkmcnt(0)
	global_load_dword v1, v2, s[6:7]
                                        ; implicit-def: $vgpr3
	s_waitcnt vmcnt(0)
	v_cmp_ge_f32_e64 s0, 0x41000000, |v1|
	v_mul_f32_e64 v2, 0x3fb8aa3b, |v1|
	s_and_saveexec_b32 s1, s0
	s_xor_b32 s0, exec_lo, s1
	s_cbranch_execz .LBB16_135
; %bb.134:
	v_fma_f32 v3, |v1|, 0.5, -2.0
	s_mov_b32 s1, 0xa2a2e5b9
	v_rndne_f32_e32 v7, v2
	v_fma_f32 v8, 0x3fb8aa3b, |v1|, -v2
	v_cmp_ngt_f32_e64 vcc_lo, 0xc2ce8ed0, |v1|
	v_fmaak_f32 v5, s1, v3, 0x24199b15
	v_sub_f32_e32 v2, v2, v7
	v_fma_f32 v8, 0x32a5705f, |v1|, v8
	v_cvt_i32_f32_e32 v7, v7
	v_fmaak_f32 v6, v3, v5, 0x22a2e5b9
	v_add_f32_e32 v2, v2, v8
	v_add_f32_e32 v6, 0xa58c275c, v6
	v_exp_f32_e32 v2, v2
	v_fma_f32 v5, v3, v6, -v5
	v_add_f32_e32 v5, 0x26f736c5, v5
	v_ldexp_f32 v2, v2, v7
	v_fma_f32 v6, v3, v5, -v6
	v_cndmask_b32_e32 v2, 0, v2, vcc_lo
	v_cmp_nlt_f32_e64 vcc_lo, 0x42b17218, |v1|
	v_add_f32_e32 v6, 0xa8528116, v6
	v_cndmask_b32_e32 v1, 0x7f800000, v2, vcc_lo
	v_fma_f32 v5, v3, v6, -v5
	v_add_f32_e32 v5, 0x29acda32, v5
	v_fma_f32 v6, v3, v5, -v6
	v_add_f32_e32 v6, 0xab08b263, v6
	;; [unrolled: 2-line block ×25, first 2 shown]
	v_sub_f32_e32 v3, v3, v5
	v_mul_f32_e32 v2, 0.5, v3
	v_mul_f32_e32 v3, v1, v2
                                        ; implicit-def: $vgpr1
                                        ; implicit-def: $vgpr2
.LBB16_135:
	s_andn2_saveexec_b32 s1, s0
	s_cbranch_execz .LBB16_137
; %bb.136:
	v_and_b32_e32 v3, 0x7fffffff, v1
	s_mov_b32 s0, 0xa3056dbb
	v_fma_f32 v9, 0x3fb8aa3b, |v1|, -v2
	v_div_scale_f32 v5, null, v3, v3, 0x42000000
	v_div_scale_f32 v3, vcc_lo, 0x42000000, v3, 0x42000000
	v_fma_f32 v9, 0x32a5705f, |v1|, v9
	v_rcp_f32_e32 v6, v5
	v_fma_f32 v7, -v5, v6, 1.0
	v_fmac_f32_e32 v6, v7, v6
	v_mul_f32_e32 v7, v3, v6
	v_fma_f32 v8, -v5, v7, v3
	v_fmac_f32_e32 v7, v8, v6
	v_rndne_f32_e32 v8, v2
	v_fma_f32 v3, -v5, v7, v3
	v_sub_f32_e32 v2, v2, v8
	v_cvt_i32_f32_e32 v8, v8
	v_div_fmas_f32 v3, v3, v6, v7
	v_mul_f32_e64 v7, 0x4f800000, |v1|
	v_cmp_gt_f32_e64 vcc_lo, 0xf800000, |v1|
	v_add_f32_e32 v2, v2, v9
	v_div_fixup_f32 v3, v3, |v1|, 0x42000000
	v_cndmask_b32_e64 v7, |v1|, v7, vcc_lo
	v_exp_f32_e32 v2, v2
	v_add_f32_e32 v3, -2.0, v3
	v_sqrt_f32_e32 v10, v7
	v_fmaak_f32 v5, s0, v3, 0xa2b236d3
	v_ldexp_f32 v2, v2, v8
	v_fmaak_f32 v6, v3, v5, 0x23056dbb
	v_add_nc_u32_e32 v9, -1, v10
	v_add_nc_u32_e32 v11, 1, v10
	v_add_f32_e32 v6, 0x244df0c1, v6
	v_fma_f32 v12, -v9, v10, v7
	v_fma_f32 v13, -v11, v10, v7
	v_fma_f32 v5, v3, v6, -v5
	v_cmp_ge_f32_e64 s0, 0, v12
	v_add_f32_e32 v5, 0x241f9ee8, v5
	v_cndmask_b32_e64 v9, v10, v9, s0
	v_cmp_lt_f32_e64 s0, 0, v13
	v_fma_f32 v6, v3, v5, -v6
	v_add_f32_e32 v6, 0xa5a3005d, v6
	v_fma_f32 v5, v3, v6, -v5
	v_add_f32_e32 v5, 0xa5c5773f, v5
	;; [unrolled: 2-line block ×20, first 2 shown]
	v_fma_f32 v3, v3, v5, -v6
	v_cndmask_b32_e64 v5, v9, v11, s0
	v_cmp_ngt_f32_e64 s0, 0xc2ce8ed0, |v1|
	v_add_f32_e32 v3, 0x3f4df315, v3
	v_mul_f32_e32 v8, 0x37800000, v5
	v_cndmask_b32_e64 v2, 0, v2, s0
	v_cmp_nlt_f32_e64 s0, 0x42b17218, |v1|
	v_sub_f32_e32 v3, v3, v6
	v_cndmask_b32_e64 v1, 0x7f800000, v2, s0
	v_cndmask_b32_e32 v2, v5, v8, vcc_lo
	v_mul_f32_e32 v3, 0.5, v3
	v_cmp_class_f32_e64 vcc_lo, v7, 0x260
	v_mul_f32_e32 v1, v1, v3
	v_cndmask_b32_e32 v2, v2, v7, vcc_lo
	v_div_scale_f32 v3, null, v2, v2, v1
	v_rcp_f32_e32 v5, v3
	v_fma_f32 v6, -v3, v5, 1.0
	v_fmac_f32_e32 v5, v6, v5
	v_div_scale_f32 v6, vcc_lo, v1, v2, v1
	v_mul_f32_e32 v7, v6, v5
	v_fma_f32 v8, -v3, v7, v6
	v_fmac_f32_e32 v7, v8, v5
	v_fma_f32 v3, -v3, v7, v6
	v_div_fmas_f32 v3, v3, v5, v7
	v_div_fixup_f32 v3, v3, v2, v1
.LBB16_137:
	s_or_b32 exec_lo, exec_lo, s1
	v_add_nc_u32_e32 v4, 0x80, v4
	global_store_dword v0, v3, s[4:5]
	s_or_b32 exec_lo, exec_lo, s30
	s_mov_b32 s20, exec_lo
	v_cmpx_gt_i32_e64 s27, v4
	s_cbranch_execz .LBB16_124
.LBB16_138:
	s_andn2_b32 vcc_lo, exec_lo, s24
	s_cbranch_vccnz .LBB16_143
; %bb.139:
	s_andn2_b32 vcc_lo, exec_lo, s29
	s_cbranch_vccnz .LBB16_144
; %bb.140:
	s_add_i32 s28, s28, 1
	s_cmp_eq_u32 s23, 2
	s_cbranch_scc1 .LBB16_145
; %bb.141:
	v_mov_b32_e32 v2, 0
	v_mov_b32_e32 v0, 0
	;; [unrolled: 1-line block ×3, first 2 shown]
	s_and_b32 s21, s28, 28
	s_mov_b32 s27, 0
	s_mov_b64 s[0:1], s[2:3]
.LBB16_142:                             ; =>This Inner Loop Header: Depth=1
	s_clause 0x1
	s_load_dwordx8 s[36:43], s[0:1], 0x4
	s_load_dwordx4 s[52:55], s[0:1], 0x24
	s_load_dwordx8 s[44:51], s[18:19], 0x0
	s_add_u32 s0, s0, 48
	s_addc_u32 s1, s1, 0
	s_add_i32 s27, s27, 4
	s_add_u32 s18, s18, 32
	s_addc_u32 s19, s19, 0
	s_cmp_eq_u32 s21, s27
	s_waitcnt lgkmcnt(0)
	v_mul_hi_u32 v3, s37, v1
	v_add_nc_u32_e32 v3, v1, v3
	v_lshrrev_b32_e32 v3, s38, v3
	v_mul_hi_u32 v5, s40, v3
	v_mul_lo_u32 v7, v3, s36
	v_add_nc_u32_e32 v5, v3, v5
	v_sub_nc_u32_e32 v1, v1, v7
	v_lshrrev_b32_e32 v5, s41, v5
	v_mul_lo_u32 v7, v1, s44
	v_mul_lo_u32 v9, v1, s45
	v_mul_hi_u32 v6, s43, v5
	v_add_nc_u32_e32 v6, v5, v6
	v_lshrrev_b32_e32 v6, s52, v6
	v_mul_hi_u32 v8, s54, v6
	v_mul_lo_u32 v10, v6, s42
	v_add_nc_u32_e32 v1, v6, v8
	v_mul_lo_u32 v8, v5, s39
	v_sub_nc_u32_e32 v5, v5, v10
	v_lshrrev_b32_e32 v1, s55, v1
	v_mul_lo_u32 v10, v5, s48
	v_mul_lo_u32 v5, v5, s49
	v_sub_nc_u32_e32 v3, v3, v8
	v_mul_lo_u32 v11, v1, s53
	v_mul_lo_u32 v8, v3, s46
	;; [unrolled: 1-line block ×3, first 2 shown]
	v_sub_nc_u32_e32 v6, v6, v11
	v_add3_u32 v0, v7, v0, v8
	v_mul_lo_u32 v11, v6, s50
	v_mul_lo_u32 v6, v6, s51
	v_add3_u32 v2, v9, v2, v3
	v_add3_u32 v0, v10, v0, v11
	;; [unrolled: 1-line block ×3, first 2 shown]
	s_cbranch_scc0 .LBB16_142
	s_branch .LBB16_146
.LBB16_143:
                                        ; implicit-def: $vgpr0
                                        ; implicit-def: $vgpr2
	s_branch .LBB16_150
.LBB16_144:
	v_mov_b32_e32 v0, 0
	v_mov_b32_e32 v2, 0
	s_branch .LBB16_149
.LBB16_145:
	v_mov_b32_e32 v0, 0
	v_mov_b32_e32 v2, 0
	;; [unrolled: 1-line block ×3, first 2 shown]
	s_mov_b32 s21, 0
.LBB16_146:
	s_and_b32 s27, s28, 3
	s_cmp_eq_u32 s27, 0
	s_cbranch_scc1 .LBB16_149
; %bb.147:
	s_lshl_b32 s0, s21, 3
	s_mul_i32 s18, s21, 12
	s_add_u32 s0, s2, s0
	s_addc_u32 s1, s3, 0
	s_add_u32 s0, s0, 0xc4
	s_addc_u32 s1, s1, 0
	;; [unrolled: 2-line block ×3, first 2 shown]
	.p2align	6
.LBB16_148:                             ; =>This Inner Loop Header: Depth=1
	s_clause 0x1
	s_load_dwordx2 s[28:29], s[18:19], 0x4
	s_load_dword s21, s[18:19], 0xc
	s_load_dwordx2 s[30:31], s[0:1], 0x0
	s_add_u32 s18, s18, 12
	s_addc_u32 s19, s19, 0
	s_add_u32 s0, s0, 8
	s_addc_u32 s1, s1, 0
	s_add_i32 s27, s27, -1
	s_cmp_lg_u32 s27, 0
	s_waitcnt lgkmcnt(0)
	v_mul_hi_u32 v3, s29, v1
	v_add_nc_u32_e32 v3, v1, v3
	v_lshrrev_b32_e32 v5, s21, v3
	v_mul_lo_u32 v3, v5, s28
	v_sub_nc_u32_e32 v3, v1, v3
	v_mad_u64_u32 v[0:1], null, v3, s30, v[0:1]
	v_mad_u64_u32 v[2:3], null, v3, s31, v[2:3]
	v_mov_b32_e32 v1, v5
	s_cbranch_scc1 .LBB16_148
.LBB16_149:
	s_cbranch_execnz .LBB16_152
.LBB16_150:
	s_waitcnt lgkmcnt(0)
	v_mul_hi_u32 v0, s13, v4
	s_andn2_b32 vcc_lo, exec_lo, s26
	v_add_nc_u32_e32 v0, v4, v0
	v_lshrrev_b32_e32 v1, s14, v0
	v_mul_lo_u32 v0, v1, s12
	v_sub_nc_u32_e32 v2, v4, v0
	v_mul_lo_u32 v0, v2, s8
	v_mul_lo_u32 v2, v2, s9
	s_cbranch_vccnz .LBB16_152
; %bb.151:
	v_mul_hi_u32 v3, s16, v1
	v_add_nc_u32_e32 v3, v1, v3
	v_lshrrev_b32_e32 v3, s17, v3
	v_mul_lo_u32 v3, v3, s15
	v_sub_nc_u32_e32 v3, v1, v3
	v_mad_u64_u32 v[0:1], null, v3, s10, v[0:1]
	v_mad_u64_u32 v[2:3], null, v3, s11, v[2:3]
.LBB16_152:
	s_waitcnt lgkmcnt(0)
	global_load_dword v1, v2, s[6:7]
                                        ; implicit-def: $vgpr3
	s_waitcnt vmcnt(0)
	v_cmp_ge_f32_e64 s0, 0x41000000, |v1|
	v_mul_f32_e64 v2, 0x3fb8aa3b, |v1|
	s_and_saveexec_b32 s1, s0
	s_xor_b32 s0, exec_lo, s1
	s_cbranch_execz .LBB16_154
; %bb.153:
	v_fma_f32 v3, |v1|, 0.5, -2.0
	s_mov_b32 s1, 0xa2a2e5b9
	v_rndne_f32_e32 v6, v2
	v_fma_f32 v7, 0x3fb8aa3b, |v1|, -v2
	v_cmp_ngt_f32_e64 vcc_lo, 0xc2ce8ed0, |v1|
	v_fmaak_f32 v4, s1, v3, 0x24199b15
	v_sub_f32_e32 v2, v2, v6
	v_fma_f32 v7, 0x32a5705f, |v1|, v7
	v_cvt_i32_f32_e32 v6, v6
	v_fmaak_f32 v5, v3, v4, 0x22a2e5b9
	v_add_f32_e32 v2, v2, v7
	v_add_f32_e32 v5, 0xa58c275c, v5
	v_exp_f32_e32 v2, v2
	v_fma_f32 v4, v3, v5, -v4
	v_add_f32_e32 v4, 0x26f736c5, v4
	v_ldexp_f32 v2, v2, v6
	v_fma_f32 v5, v3, v4, -v5
	v_cndmask_b32_e32 v2, 0, v2, vcc_lo
	v_cmp_nlt_f32_e64 vcc_lo, 0x42b17218, |v1|
	v_add_f32_e32 v5, 0xa8528116, v5
	v_cndmask_b32_e32 v1, 0x7f800000, v2, vcc_lo
	v_fma_f32 v4, v3, v5, -v4
	v_add_f32_e32 v4, 0x29acda32, v4
	v_fma_f32 v5, v3, v4, -v5
	v_add_f32_e32 v5, 0xab08b263, v5
	;; [unrolled: 2-line block ×25, first 2 shown]
	v_sub_f32_e32 v3, v3, v4
	v_mul_f32_e32 v2, 0.5, v3
	v_mul_f32_e32 v3, v1, v2
                                        ; implicit-def: $vgpr1
                                        ; implicit-def: $vgpr2
.LBB16_154:
	s_andn2_saveexec_b32 s1, s0
	s_cbranch_execz .LBB16_156
; %bb.155:
	v_and_b32_e32 v3, 0x7fffffff, v1
	s_mov_b32 s0, 0xa3056dbb
	v_fma_f32 v8, 0x3fb8aa3b, |v1|, -v2
	v_div_scale_f32 v4, null, v3, v3, 0x42000000
	v_div_scale_f32 v3, vcc_lo, 0x42000000, v3, 0x42000000
	v_fma_f32 v8, 0x32a5705f, |v1|, v8
	v_rcp_f32_e32 v5, v4
	v_fma_f32 v6, -v4, v5, 1.0
	v_fmac_f32_e32 v5, v6, v5
	v_mul_f32_e32 v6, v3, v5
	v_fma_f32 v7, -v4, v6, v3
	v_fmac_f32_e32 v6, v7, v5
	v_rndne_f32_e32 v7, v2
	v_fma_f32 v3, -v4, v6, v3
	v_sub_f32_e32 v2, v2, v7
	v_cvt_i32_f32_e32 v7, v7
	v_div_fmas_f32 v3, v3, v5, v6
	v_mul_f32_e64 v6, 0x4f800000, |v1|
	v_cmp_gt_f32_e64 vcc_lo, 0xf800000, |v1|
	v_add_f32_e32 v2, v2, v8
	v_div_fixup_f32 v3, v3, |v1|, 0x42000000
	v_cndmask_b32_e64 v6, |v1|, v6, vcc_lo
	v_exp_f32_e32 v2, v2
	v_add_f32_e32 v3, -2.0, v3
	v_sqrt_f32_e32 v9, v6
	v_fmaak_f32 v4, s0, v3, 0xa2b236d3
	v_ldexp_f32 v2, v2, v7
	v_fmaak_f32 v5, v3, v4, 0x23056dbb
	v_add_nc_u32_e32 v8, -1, v9
	v_add_nc_u32_e32 v10, 1, v9
	v_add_f32_e32 v5, 0x244df0c1, v5
	v_fma_f32 v11, -v8, v9, v6
	v_fma_f32 v12, -v10, v9, v6
	v_fma_f32 v4, v3, v5, -v4
	v_cmp_ge_f32_e64 s0, 0, v11
	v_add_f32_e32 v4, 0x241f9ee8, v4
	v_cndmask_b32_e64 v8, v9, v8, s0
	v_cmp_lt_f32_e64 s0, 0, v12
	v_fma_f32 v5, v3, v4, -v5
	v_add_f32_e32 v5, 0xa5a3005d, v5
	v_fma_f32 v4, v3, v5, -v4
	v_add_f32_e32 v4, 0xa5c5773f, v4
	;; [unrolled: 2-line block ×20, first 2 shown]
	v_fma_f32 v3, v3, v4, -v5
	v_cndmask_b32_e64 v4, v8, v10, s0
	v_cmp_ngt_f32_e64 s0, 0xc2ce8ed0, |v1|
	v_add_f32_e32 v3, 0x3f4df315, v3
	v_mul_f32_e32 v7, 0x37800000, v4
	v_cndmask_b32_e64 v2, 0, v2, s0
	v_cmp_nlt_f32_e64 s0, 0x42b17218, |v1|
	v_sub_f32_e32 v3, v3, v5
	v_cndmask_b32_e64 v1, 0x7f800000, v2, s0
	v_cndmask_b32_e32 v2, v4, v7, vcc_lo
	v_mul_f32_e32 v3, 0.5, v3
	v_cmp_class_f32_e64 vcc_lo, v6, 0x260
	v_mul_f32_e32 v1, v1, v3
	v_cndmask_b32_e32 v2, v2, v6, vcc_lo
	v_div_scale_f32 v3, null, v2, v2, v1
	v_rcp_f32_e32 v4, v3
	v_fma_f32 v5, -v3, v4, 1.0
	v_fmac_f32_e32 v4, v5, v4
	v_div_scale_f32 v5, vcc_lo, v1, v2, v1
	v_mul_f32_e32 v6, v5, v4
	v_fma_f32 v7, -v3, v6, v5
	v_fmac_f32_e32 v6, v7, v4
	v_fma_f32 v3, -v3, v6, v5
	v_div_fmas_f32 v3, v3, v4, v6
	v_div_fixup_f32 v3, v3, v2, v1
.LBB16_156:
	s_or_b32 exec_lo, exec_lo, s1
	global_store_dword v0, v3, s[4:5]
	s_or_b32 exec_lo, exec_lo, s20
                                        ; implicit-def: $vgpr10
                                        ; implicit-def: $vgpr4
	s_andn2_saveexec_b32 s0, s25
	s_cbranch_execz .LBB16_125
	s_branch .LBB16_8
	.section	.rodata,"a",@progbits
	.p2align	6, 0x0
	.amdhsa_kernel _ZN2at6native32elementwise_kernel_manual_unrollILi128ELi4EZNS0_22gpu_kernel_impl_nocastIZZZNS0_12_GLOBAL__N_130modified_bessel_i0_kernel_cudaERNS_18TensorIteratorBaseEENKUlvE_clEvENKUlvE0_clEvEUlfE_EEvS5_RKT_EUlibE_EEviT1_
		.amdhsa_group_segment_fixed_size 0
		.amdhsa_private_segment_fixed_size 0
		.amdhsa_kernarg_size 360
		.amdhsa_user_sgpr_count 6
		.amdhsa_user_sgpr_private_segment_buffer 1
		.amdhsa_user_sgpr_dispatch_ptr 0
		.amdhsa_user_sgpr_queue_ptr 0
		.amdhsa_user_sgpr_kernarg_segment_ptr 1
		.amdhsa_user_sgpr_dispatch_id 0
		.amdhsa_user_sgpr_flat_scratch_init 0
		.amdhsa_user_sgpr_private_segment_size 0
		.amdhsa_wavefront_size32 1
		.amdhsa_uses_dynamic_stack 0
		.amdhsa_system_sgpr_private_segment_wavefront_offset 0
		.amdhsa_system_sgpr_workgroup_id_x 1
		.amdhsa_system_sgpr_workgroup_id_y 0
		.amdhsa_system_sgpr_workgroup_id_z 0
		.amdhsa_system_sgpr_workgroup_info 0
		.amdhsa_system_vgpr_workitem_id 0
		.amdhsa_next_free_vgpr 19
		.amdhsa_next_free_sgpr 56
		.amdhsa_reserve_vcc 1
		.amdhsa_reserve_flat_scratch 0
		.amdhsa_float_round_mode_32 0
		.amdhsa_float_round_mode_16_64 0
		.amdhsa_float_denorm_mode_32 3
		.amdhsa_float_denorm_mode_16_64 3
		.amdhsa_dx10_clamp 1
		.amdhsa_ieee_mode 1
		.amdhsa_fp16_overflow 0
		.amdhsa_workgroup_processor_mode 1
		.amdhsa_memory_ordered 1
		.amdhsa_forward_progress 1
		.amdhsa_shared_vgpr_count 0
		.amdhsa_exception_fp_ieee_invalid_op 0
		.amdhsa_exception_fp_denorm_src 0
		.amdhsa_exception_fp_ieee_div_zero 0
		.amdhsa_exception_fp_ieee_overflow 0
		.amdhsa_exception_fp_ieee_underflow 0
		.amdhsa_exception_fp_ieee_inexact 0
		.amdhsa_exception_int_div_zero 0
	.end_amdhsa_kernel
	.section	.text._ZN2at6native32elementwise_kernel_manual_unrollILi128ELi4EZNS0_22gpu_kernel_impl_nocastIZZZNS0_12_GLOBAL__N_130modified_bessel_i0_kernel_cudaERNS_18TensorIteratorBaseEENKUlvE_clEvENKUlvE0_clEvEUlfE_EEvS5_RKT_EUlibE_EEviT1_,"axG",@progbits,_ZN2at6native32elementwise_kernel_manual_unrollILi128ELi4EZNS0_22gpu_kernel_impl_nocastIZZZNS0_12_GLOBAL__N_130modified_bessel_i0_kernel_cudaERNS_18TensorIteratorBaseEENKUlvE_clEvENKUlvE0_clEvEUlfE_EEvS5_RKT_EUlibE_EEviT1_,comdat
.Lfunc_end16:
	.size	_ZN2at6native32elementwise_kernel_manual_unrollILi128ELi4EZNS0_22gpu_kernel_impl_nocastIZZZNS0_12_GLOBAL__N_130modified_bessel_i0_kernel_cudaERNS_18TensorIteratorBaseEENKUlvE_clEvENKUlvE0_clEvEUlfE_EEvS5_RKT_EUlibE_EEviT1_, .Lfunc_end16-_ZN2at6native32elementwise_kernel_manual_unrollILi128ELi4EZNS0_22gpu_kernel_impl_nocastIZZZNS0_12_GLOBAL__N_130modified_bessel_i0_kernel_cudaERNS_18TensorIteratorBaseEENKUlvE_clEvENKUlvE0_clEvEUlfE_EEvS5_RKT_EUlibE_EEviT1_
                                        ; -- End function
	.set _ZN2at6native32elementwise_kernel_manual_unrollILi128ELi4EZNS0_22gpu_kernel_impl_nocastIZZZNS0_12_GLOBAL__N_130modified_bessel_i0_kernel_cudaERNS_18TensorIteratorBaseEENKUlvE_clEvENKUlvE0_clEvEUlfE_EEvS5_RKT_EUlibE_EEviT1_.num_vgpr, 19
	.set _ZN2at6native32elementwise_kernel_manual_unrollILi128ELi4EZNS0_22gpu_kernel_impl_nocastIZZZNS0_12_GLOBAL__N_130modified_bessel_i0_kernel_cudaERNS_18TensorIteratorBaseEENKUlvE_clEvENKUlvE0_clEvEUlfE_EEvS5_RKT_EUlibE_EEviT1_.num_agpr, 0
	.set _ZN2at6native32elementwise_kernel_manual_unrollILi128ELi4EZNS0_22gpu_kernel_impl_nocastIZZZNS0_12_GLOBAL__N_130modified_bessel_i0_kernel_cudaERNS_18TensorIteratorBaseEENKUlvE_clEvENKUlvE0_clEvEUlfE_EEvS5_RKT_EUlibE_EEviT1_.numbered_sgpr, 56
	.set _ZN2at6native32elementwise_kernel_manual_unrollILi128ELi4EZNS0_22gpu_kernel_impl_nocastIZZZNS0_12_GLOBAL__N_130modified_bessel_i0_kernel_cudaERNS_18TensorIteratorBaseEENKUlvE_clEvENKUlvE0_clEvEUlfE_EEvS5_RKT_EUlibE_EEviT1_.num_named_barrier, 0
	.set _ZN2at6native32elementwise_kernel_manual_unrollILi128ELi4EZNS0_22gpu_kernel_impl_nocastIZZZNS0_12_GLOBAL__N_130modified_bessel_i0_kernel_cudaERNS_18TensorIteratorBaseEENKUlvE_clEvENKUlvE0_clEvEUlfE_EEvS5_RKT_EUlibE_EEviT1_.private_seg_size, 0
	.set _ZN2at6native32elementwise_kernel_manual_unrollILi128ELi4EZNS0_22gpu_kernel_impl_nocastIZZZNS0_12_GLOBAL__N_130modified_bessel_i0_kernel_cudaERNS_18TensorIteratorBaseEENKUlvE_clEvENKUlvE0_clEvEUlfE_EEvS5_RKT_EUlibE_EEviT1_.uses_vcc, 1
	.set _ZN2at6native32elementwise_kernel_manual_unrollILi128ELi4EZNS0_22gpu_kernel_impl_nocastIZZZNS0_12_GLOBAL__N_130modified_bessel_i0_kernel_cudaERNS_18TensorIteratorBaseEENKUlvE_clEvENKUlvE0_clEvEUlfE_EEvS5_RKT_EUlibE_EEviT1_.uses_flat_scratch, 0
	.set _ZN2at6native32elementwise_kernel_manual_unrollILi128ELi4EZNS0_22gpu_kernel_impl_nocastIZZZNS0_12_GLOBAL__N_130modified_bessel_i0_kernel_cudaERNS_18TensorIteratorBaseEENKUlvE_clEvENKUlvE0_clEvEUlfE_EEvS5_RKT_EUlibE_EEviT1_.has_dyn_sized_stack, 0
	.set _ZN2at6native32elementwise_kernel_manual_unrollILi128ELi4EZNS0_22gpu_kernel_impl_nocastIZZZNS0_12_GLOBAL__N_130modified_bessel_i0_kernel_cudaERNS_18TensorIteratorBaseEENKUlvE_clEvENKUlvE0_clEvEUlfE_EEvS5_RKT_EUlibE_EEviT1_.has_recursion, 0
	.set _ZN2at6native32elementwise_kernel_manual_unrollILi128ELi4EZNS0_22gpu_kernel_impl_nocastIZZZNS0_12_GLOBAL__N_130modified_bessel_i0_kernel_cudaERNS_18TensorIteratorBaseEENKUlvE_clEvENKUlvE0_clEvEUlfE_EEvS5_RKT_EUlibE_EEviT1_.has_indirect_call, 0
	.section	.AMDGPU.csdata,"",@progbits
; Kernel info:
; codeLenInByte = 17396
; TotalNumSgprs: 58
; NumVgprs: 19
; ScratchSize: 0
; MemoryBound: 0
; FloatMode: 240
; IeeeMode: 1
; LDSByteSize: 0 bytes/workgroup (compile time only)
; SGPRBlocks: 0
; VGPRBlocks: 2
; NumSGPRsForWavesPerEU: 58
; NumVGPRsForWavesPerEU: 19
; Occupancy: 16
; WaveLimiterHint : 1
; COMPUTE_PGM_RSRC2:SCRATCH_EN: 0
; COMPUTE_PGM_RSRC2:USER_SGPR: 6
; COMPUTE_PGM_RSRC2:TRAP_HANDLER: 0
; COMPUTE_PGM_RSRC2:TGID_X_EN: 1
; COMPUTE_PGM_RSRC2:TGID_Y_EN: 0
; COMPUTE_PGM_RSRC2:TGID_Z_EN: 0
; COMPUTE_PGM_RSRC2:TIDIG_COMP_CNT: 0
	.section	.text._ZN2at6native32elementwise_kernel_manual_unrollILi128ELi4EZNS0_15gpu_kernel_implIZZZNS0_12_GLOBAL__N_130modified_bessel_i0_kernel_cudaERNS_18TensorIteratorBaseEENKUlvE_clEvENKUlvE0_clEvEUlfE_EEvS5_RKT_EUlibE_EEviT1_,"axG",@progbits,_ZN2at6native32elementwise_kernel_manual_unrollILi128ELi4EZNS0_15gpu_kernel_implIZZZNS0_12_GLOBAL__N_130modified_bessel_i0_kernel_cudaERNS_18TensorIteratorBaseEENKUlvE_clEvENKUlvE0_clEvEUlfE_EEvS5_RKT_EUlibE_EEviT1_,comdat
	.globl	_ZN2at6native32elementwise_kernel_manual_unrollILi128ELi4EZNS0_15gpu_kernel_implIZZZNS0_12_GLOBAL__N_130modified_bessel_i0_kernel_cudaERNS_18TensorIteratorBaseEENKUlvE_clEvENKUlvE0_clEvEUlfE_EEvS5_RKT_EUlibE_EEviT1_ ; -- Begin function _ZN2at6native32elementwise_kernel_manual_unrollILi128ELi4EZNS0_15gpu_kernel_implIZZZNS0_12_GLOBAL__N_130modified_bessel_i0_kernel_cudaERNS_18TensorIteratorBaseEENKUlvE_clEvENKUlvE0_clEvEUlfE_EEvS5_RKT_EUlibE_EEviT1_
	.p2align	8
	.type	_ZN2at6native32elementwise_kernel_manual_unrollILi128ELi4EZNS0_15gpu_kernel_implIZZZNS0_12_GLOBAL__N_130modified_bessel_i0_kernel_cudaERNS_18TensorIteratorBaseEENKUlvE_clEvENKUlvE0_clEvEUlfE_EEvS5_RKT_EUlibE_EEviT1_,@function
_ZN2at6native32elementwise_kernel_manual_unrollILi128ELi4EZNS0_15gpu_kernel_implIZZZNS0_12_GLOBAL__N_130modified_bessel_i0_kernel_cudaERNS_18TensorIteratorBaseEENKUlvE_clEvENKUlvE0_clEvEUlfE_EEvS5_RKT_EUlibE_EEviT1_: ; @_ZN2at6native32elementwise_kernel_manual_unrollILi128ELi4EZNS0_15gpu_kernel_implIZZZNS0_12_GLOBAL__N_130modified_bessel_i0_kernel_cudaERNS_18TensorIteratorBaseEENKUlvE_clEvENKUlvE0_clEvEUlfE_EEvS5_RKT_EUlibE_EEviT1_
; %bb.0:
	v_mov_b32_e32 v1, 0
	s_clause 0x2
	s_load_dword s12, s[4:5], 0x0
	s_load_dwordx2 s[2:3], s[4:5], 0x18
	s_load_dwordx4 s[8:11], s[4:5], 0x8
	v_lshl_or_b32 v7, s6, 9, v0
	s_mov_b32 s7, 0
	global_load_ushort v1, v1, s[4:5] offset:33
	s_mov_b32 s4, 0
	v_or_b32_e32 v0, 0x180, v7
	s_waitcnt vmcnt(0)
	v_readfirstlane_b32 s1, v1
	s_and_b32 s0, 0xffff, s1
	s_lshr_b32 s5, s0, 8
	s_mov_b32 s0, exec_lo
	s_waitcnt lgkmcnt(0)
	v_cmpx_le_i32_e64 s12, v0
	s_xor_b32 s6, exec_lo, s0
	s_cbranch_execz .LBB17_1047
; %bb.1:
	s_mov_b32 s17, -1
	s_mov_b32 s15, 0
	s_mov_b32 s13, 0
	s_mov_b32 s14, exec_lo
	v_cmpx_gt_i32_e64 s12, v7
	s_cbranch_execz .LBB17_256
; %bb.2:
	v_mul_lo_u32 v0, v7, s3
	s_and_b32 s0, 0xffff, s5
	s_cmp_lt_i32 s0, 11
	v_ashrrev_i32_e32 v1, 31, v0
	v_add_co_u32 v0, vcc_lo, s10, v0
	v_add_co_ci_u32_e64 v1, null, s11, v1, vcc_lo
	s_cbranch_scc1 .LBB17_9
; %bb.3:
	s_cmp_gt_i32 s0, 25
	s_cbranch_scc0 .LBB17_22
; %bb.4:
	s_cmp_gt_i32 s0, 28
	s_cbranch_scc0 .LBB17_25
	;; [unrolled: 3-line block ×4, first 2 shown]
; %bb.7:
	s_cmp_eq_u32 s0, 46
	s_mov_b32 s16, 0
	s_cbranch_scc0 .LBB17_31
; %bb.8:
	global_load_dword v2, v[0:1], off
	s_mov_b32 s7, -1
	s_waitcnt vmcnt(0)
	v_lshlrev_b32_e32 v2, 16, v2
	s_branch .LBB17_33
.LBB17_9:
                                        ; implicit-def: $vgpr2
	s_cbranch_execnz .LBB17_206
.LBB17_10:
	s_andn2_b32 vcc_lo, exec_lo, s7
	s_cbranch_vccnz .LBB17_253
.LBB17_11:
	s_waitcnt vmcnt(0)
	v_cmp_ge_f32_e64 s0, 0x41000000, |v2|
	v_mul_f32_e64 v1, 0x3fb8aa3b, |v2|
                                        ; implicit-def: $vgpr0
	s_and_saveexec_b32 s7, s0
	s_xor_b32 s0, exec_lo, s7
	s_cbranch_execz .LBB17_13
; %bb.12:
	v_fma_f32 v0, |v2|, 0.5, -2.0
	s_mov_b32 s7, 0xa2a2e5b9
	v_rndne_f32_e32 v5, v1
	v_fma_f32 v6, 0x3fb8aa3b, |v2|, -v1
	v_cmp_ngt_f32_e64 vcc_lo, 0xc2ce8ed0, |v2|
	v_fmaak_f32 v3, s7, v0, 0x24199b15
	v_sub_f32_e32 v1, v1, v5
	v_fma_f32 v6, 0x32a5705f, |v2|, v6
	v_cvt_i32_f32_e32 v5, v5
	v_fmaak_f32 v4, v0, v3, 0x22a2e5b9
	v_add_f32_e32 v1, v1, v6
	v_add_f32_e32 v4, 0xa58c275c, v4
	v_exp_f32_e32 v1, v1
	v_fma_f32 v3, v0, v4, -v3
	v_add_f32_e32 v3, 0x26f736c5, v3
	v_ldexp_f32 v1, v1, v5
	v_fma_f32 v4, v0, v3, -v4
	v_cndmask_b32_e32 v1, 0, v1, vcc_lo
	v_cmp_nlt_f32_e64 vcc_lo, 0x42b17218, |v2|
	v_add_f32_e32 v4, 0xa8528116, v4
                                        ; implicit-def: $vgpr2
	v_cndmask_b32_e32 v1, 0x7f800000, v1, vcc_lo
	v_fma_f32 v3, v0, v4, -v3
	v_add_f32_e32 v3, 0x29acda32, v3
	v_fma_f32 v4, v0, v3, -v4
	v_add_f32_e32 v4, 0xab08b263, v4
	;; [unrolled: 2-line block ×25, first 2 shown]
	v_sub_f32_e32 v0, v0, v3
	v_mul_f32_e32 v0, 0.5, v0
	v_mul_f32_e32 v0, v1, v0
                                        ; implicit-def: $vgpr1
.LBB17_13:
	s_andn2_saveexec_b32 s7, s0
	s_cbranch_execz .LBB17_15
; %bb.14:
	v_and_b32_e32 v0, 0x7fffffff, v2
	s_mov_b32 s0, 0xa3056dbb
	v_fma_f32 v8, 0x3fb8aa3b, |v2|, -v1
	v_div_scale_f32 v3, null, v0, v0, 0x42000000
	v_div_scale_f32 v0, vcc_lo, 0x42000000, v0, 0x42000000
	v_fma_f32 v8, 0x32a5705f, |v2|, v8
	v_rcp_f32_e32 v4, v3
	v_fma_f32 v5, -v3, v4, 1.0
	v_fmac_f32_e32 v4, v5, v4
	v_mul_f32_e32 v5, v0, v4
	v_fma_f32 v6, -v3, v5, v0
	v_fmac_f32_e32 v5, v6, v4
	v_rndne_f32_e32 v6, v1
	v_fma_f32 v0, -v3, v5, v0
	v_sub_f32_e32 v1, v1, v6
	v_cvt_i32_f32_e32 v6, v6
	v_div_fmas_f32 v0, v0, v4, v5
	v_mul_f32_e64 v5, 0x4f800000, |v2|
	v_cmp_gt_f32_e64 vcc_lo, 0xf800000, |v2|
	v_add_f32_e32 v1, v1, v8
	v_div_fixup_f32 v0, v0, |v2|, 0x42000000
	v_cndmask_b32_e64 v5, |v2|, v5, vcc_lo
	v_exp_f32_e32 v1, v1
	v_add_f32_e32 v0, -2.0, v0
	v_sqrt_f32_e32 v9, v5
	v_fmaak_f32 v3, s0, v0, 0xa2b236d3
	v_ldexp_f32 v1, v1, v6
	v_fmaak_f32 v4, v0, v3, 0x23056dbb
	v_add_nc_u32_e32 v8, -1, v9
	v_add_nc_u32_e32 v10, 1, v9
	v_add_f32_e32 v4, 0x244df0c1, v4
	v_fma_f32 v11, -v8, v9, v5
	v_fma_f32 v12, -v10, v9, v5
	v_fma_f32 v3, v0, v4, -v3
	v_cmp_ge_f32_e64 s0, 0, v11
	v_add_f32_e32 v3, 0x241f9ee8, v3
	v_cndmask_b32_e64 v8, v9, v8, s0
	v_cmp_lt_f32_e64 s0, 0, v12
	v_fma_f32 v4, v0, v3, -v4
	v_add_f32_e32 v4, 0xa5a3005d, v4
	v_fma_f32 v3, v0, v4, -v3
	v_add_f32_e32 v3, 0xa5c5773f, v3
	;; [unrolled: 2-line block ×20, first 2 shown]
	v_fma_f32 v0, v0, v3, -v4
	v_cndmask_b32_e64 v3, v8, v10, s0
	v_cmp_ngt_f32_e64 s0, 0xc2ce8ed0, |v2|
	v_add_f32_e32 v0, 0x3f4df315, v0
	v_mul_f32_e32 v6, 0x37800000, v3
	v_cndmask_b32_e64 v1, 0, v1, s0
	v_cmp_nlt_f32_e64 s0, 0x42b17218, |v2|
	v_sub_f32_e32 v0, v0, v4
	v_cndmask_b32_e32 v2, v3, v6, vcc_lo
	v_cmp_class_f32_e64 vcc_lo, v5, 0x260
	v_cndmask_b32_e64 v1, 0x7f800000, v1, s0
	v_mul_f32_e32 v0, 0.5, v0
	v_cndmask_b32_e32 v2, v2, v5, vcc_lo
	v_mul_f32_e32 v0, v1, v0
	v_div_scale_f32 v1, null, v2, v2, v0
	v_rcp_f32_e32 v3, v1
	v_fma_f32 v4, -v1, v3, 1.0
	v_fmac_f32_e32 v3, v4, v3
	v_div_scale_f32 v4, vcc_lo, v0, v2, v0
	v_mul_f32_e32 v5, v4, v3
	v_fma_f32 v6, -v1, v5, v4
	v_fmac_f32_e32 v5, v6, v3
	v_fma_f32 v1, -v1, v5, v4
	v_div_fmas_f32 v1, v1, v3, v5
	v_div_fixup_f32 v0, v1, v2, v0
.LBB17_15:
	s_or_b32 exec_lo, exec_lo, s7
	v_mul_lo_u32 v1, v7, s2
	s_and_b32 s7, s1, 0xff
	s_cmp_lt_i32 s7, 11
	v_ashrrev_i32_e32 v3, 31, v1
	v_add_co_u32 v2, vcc_lo, s8, v1
	v_add_co_ci_u32_e64 v3, null, s9, v3, vcc_lo
	s_cbranch_scc1 .LBB17_23
; %bb.16:
	s_and_b32 s16, 0xffff, s7
	s_cmp_gt_i32 s16, 25
	s_cbranch_scc0 .LBB17_26
; %bb.17:
	s_cmp_gt_i32 s16, 28
	s_cbranch_scc0 .LBB17_28
; %bb.18:
	;; [unrolled: 3-line block ×4, first 2 shown]
	s_mov_b32 s18, 0
	s_mov_b32 s0, -1
	s_cmp_eq_u32 s16, 46
	s_mov_b32 s17, 0
	s_cbranch_scc0 .LBB17_37
; %bb.21:
	v_bfe_u32 v1, v0, 16, 1
	v_cmp_o_f32_e32 vcc_lo, v0, v0
	v_mov_b32_e32 v4, 0x7fc0
	s_mov_b32 s17, -1
	s_mov_b32 s0, 0
	v_add3_u32 v1, v0, v1, 0x7fff
	v_cndmask_b32_sdwa v1, v4, v1, vcc_lo dst_sel:DWORD dst_unused:UNUSED_PAD src0_sel:DWORD src1_sel:WORD_1
	global_store_dword v[2:3], v1, off
	s_branch .LBB17_37
.LBB17_22:
                                        ; implicit-def: $vgpr2
	s_cbranch_execnz .LBB17_171
	s_branch .LBB17_205
.LBB17_23:
	s_mov_b32 s0, 0
	s_mov_b32 s17, 0
	s_cbranch_execnz .LBB17_106
.LBB17_24:
	s_andn2_b32 vcc_lo, exec_lo, s17
	s_cbranch_vccnz .LBB17_254
	s_branch .LBB17_144
.LBB17_25:
	s_mov_b32 s16, -1
                                        ; implicit-def: $vgpr2
	s_branch .LBB17_152
.LBB17_26:
	s_mov_b32 s18, -1
	s_mov_b32 s0, 0
	s_mov_b32 s17, 0
	s_branch .LBB17_64
.LBB17_27:
	s_mov_b32 s16, -1
                                        ; implicit-def: $vgpr2
	s_branch .LBB17_147
.LBB17_28:
	s_mov_b32 s18, -1
	s_mov_b32 s0, 0
	s_mov_b32 s17, 0
	s_branch .LBB17_47
.LBB17_29:
	s_mov_b32 s16, -1
	s_branch .LBB17_32
.LBB17_30:
	s_mov_b32 s18, -1
	s_mov_b32 s0, 0
	s_mov_b32 s17, 0
	s_branch .LBB17_43
.LBB17_31:
	s_mov_b32 s13, -1
.LBB17_32:
                                        ; implicit-def: $vgpr2
.LBB17_33:
	s_and_b32 vcc_lo, exec_lo, s16
	s_cbranch_vccz .LBB17_146
; %bb.34:
	s_cmp_eq_u32 s0, 44
	s_cbranch_scc0 .LBB17_145
; %bb.35:
	global_load_ubyte v2, v[0:1], off
	s_mov_b32 s13, 0
	s_mov_b32 s7, -1
	s_waitcnt vmcnt(0)
	v_lshlrev_b32_e32 v3, 23, v2
	v_cmp_ne_u32_e32 vcc_lo, 0xff, v2
	v_cndmask_b32_e32 v3, 0x7f800001, v3, vcc_lo
	v_cmp_ne_u32_e32 vcc_lo, 0, v2
	v_cndmask_b32_e32 v2, 0x400000, v3, vcc_lo
	s_branch .LBB17_146
.LBB17_36:
	s_mov_b32 s18, -1
	s_mov_b32 s0, 0
	s_mov_b32 s17, 0
.LBB17_37:
	s_and_b32 vcc_lo, exec_lo, s18
	s_cbranch_vccz .LBB17_42
; %bb.38:
	s_cmp_eq_u32 s16, 44
	s_mov_b32 s0, -1
	s_cbranch_scc0 .LBB17_42
; %bb.39:
	v_bfe_u32 v4, v0, 23, 8
	v_mov_b32_e32 v1, 0xff
	s_mov_b32 s17, exec_lo
	v_cmpx_ne_u32_e32 0xff, v4
	s_cbranch_execz .LBB17_41
; %bb.40:
	v_and_b32_e32 v1, 0x400000, v0
	v_and_or_b32 v4, 0x3fffff, v0, v4
	v_cmp_ne_u32_e32 vcc_lo, 0, v1
	v_cmp_ne_u32_e64 s0, 0, v4
	v_lshrrev_b32_e32 v1, 23, v0
	s_and_b32 s0, vcc_lo, s0
	v_cndmask_b32_e64 v4, 0, 1, s0
	v_add_nc_u32_e32 v1, v1, v4
.LBB17_41:
	s_or_b32 exec_lo, exec_lo, s17
	s_mov_b32 s17, -1
	s_mov_b32 s0, 0
	global_store_byte v[2:3], v1, off
.LBB17_42:
	s_mov_b32 s18, 0
.LBB17_43:
	s_and_b32 vcc_lo, exec_lo, s18
	s_cbranch_vccz .LBB17_46
; %bb.44:
	s_cmp_eq_u32 s16, 29
	s_mov_b32 s0, -1
	s_cbranch_scc0 .LBB17_46
; %bb.45:
	v_trunc_f32_e32 v1, v0
	s_mov_b32 s17, -1
	s_mov_b32 s0, 0
	s_mov_b32 s18, 0
	v_mul_f32_e32 v4, 0x2f800000, v1
	v_floor_f32_e32 v4, v4
	v_fmamk_f32 v1, v4, 0xcf800000, v1
	v_cvt_u32_f32_e32 v5, v4
	v_cvt_u32_f32_e32 v4, v1
	global_store_dwordx2 v[2:3], v[4:5], off
	s_branch .LBB17_47
.LBB17_46:
	s_mov_b32 s18, 0
.LBB17_47:
	s_and_b32 vcc_lo, exec_lo, s18
	s_cbranch_vccz .LBB17_63
; %bb.48:
	s_cmp_lt_i32 s16, 27
	s_mov_b32 s17, -1
	s_cbranch_scc1 .LBB17_54
; %bb.49:
	v_cvt_u32_f32_e32 v1, v0
	s_cmp_gt_i32 s16, 27
	s_cbranch_scc0 .LBB17_51
; %bb.50:
	s_mov_b32 s17, 0
	global_store_dword v[2:3], v1, off
.LBB17_51:
	s_andn2_b32 vcc_lo, exec_lo, s17
	s_cbranch_vccnz .LBB17_53
; %bb.52:
	global_store_short v[2:3], v1, off
.LBB17_53:
	s_mov_b32 s17, 0
.LBB17_54:
	s_andn2_b32 vcc_lo, exec_lo, s17
	s_cbranch_vccnz .LBB17_62
; %bb.55:
	v_and_b32_e32 v1, 0x7fffffff, v0
	v_mov_b32_e32 v4, 0x80
	s_mov_b32 s17, exec_lo
	v_cmpx_gt_u32_e32 0x43800000, v1
	s_cbranch_execz .LBB17_61
; %bb.56:
	v_cmp_lt_u32_e32 vcc_lo, 0x3bffffff, v1
	s_mov_b32 s18, 0
                                        ; implicit-def: $vgpr1
	s_and_saveexec_b32 s19, vcc_lo
	s_xor_b32 s19, exec_lo, s19
	s_cbranch_execz .LBB17_287
; %bb.57:
	v_bfe_u32 v1, v0, 20, 1
	s_mov_b32 s18, exec_lo
	v_add3_u32 v1, v0, v1, 0x487ffff
	v_lshrrev_b32_e32 v1, 20, v1
	s_andn2_saveexec_b32 s19, s19
	s_cbranch_execnz .LBB17_288
.LBB17_58:
	s_or_b32 exec_lo, exec_lo, s19
	v_mov_b32_e32 v4, 0
	s_and_saveexec_b32 s19, s18
.LBB17_59:
	v_lshrrev_b32_e32 v4, 24, v0
	v_and_or_b32 v4, 0x80, v4, v1
.LBB17_60:
	s_or_b32 exec_lo, exec_lo, s19
.LBB17_61:
	s_or_b32 exec_lo, exec_lo, s17
	global_store_byte v[2:3], v4, off
.LBB17_62:
	s_mov_b32 s17, -1
.LBB17_63:
	s_mov_b32 s18, 0
.LBB17_64:
	s_and_b32 vcc_lo, exec_lo, s18
	s_cbranch_vccz .LBB17_105
; %bb.65:
	s_cmp_gt_i32 s16, 22
	s_mov_b32 s18, -1
	s_cbranch_scc0 .LBB17_97
; %bb.66:
	s_cmp_lt_i32 s16, 24
	s_mov_b32 s17, -1
	s_cbranch_scc1 .LBB17_86
; %bb.67:
	s_cmp_gt_i32 s16, 24
	s_cbranch_scc0 .LBB17_75
; %bb.68:
	v_and_b32_e32 v1, 0x7fffffff, v0
	v_mov_b32_e32 v4, 0x80
	s_mov_b32 s17, exec_lo
	v_cmpx_gt_u32_e32 0x47800000, v1
	s_cbranch_execz .LBB17_74
; %bb.69:
	v_cmp_lt_u32_e32 vcc_lo, 0x37ffffff, v1
	s_mov_b32 s18, 0
                                        ; implicit-def: $vgpr1
	s_and_saveexec_b32 s19, vcc_lo
	s_xor_b32 s19, exec_lo, s19
	s_cbranch_execz .LBB17_291
; %bb.70:
	v_bfe_u32 v1, v0, 21, 1
	s_mov_b32 s18, exec_lo
	v_add3_u32 v1, v0, v1, 0x88fffff
	v_lshrrev_b32_e32 v1, 21, v1
	s_andn2_saveexec_b32 s19, s19
	s_cbranch_execnz .LBB17_292
.LBB17_71:
	s_or_b32 exec_lo, exec_lo, s19
	v_mov_b32_e32 v4, 0
	s_and_saveexec_b32 s19, s18
.LBB17_72:
	v_lshrrev_b32_e32 v4, 24, v0
	v_and_or_b32 v4, 0x80, v4, v1
.LBB17_73:
	s_or_b32 exec_lo, exec_lo, s19
.LBB17_74:
	s_or_b32 exec_lo, exec_lo, s17
	s_mov_b32 s17, 0
	global_store_byte v[2:3], v4, off
.LBB17_75:
	s_and_b32 vcc_lo, exec_lo, s17
	s_cbranch_vccz .LBB17_85
; %bb.76:
	v_and_b32_e32 v4, 0x7fffffff, v0
	s_mov_b32 s17, exec_lo
                                        ; implicit-def: $vgpr1
	v_cmpx_gt_u32_e32 0x43f00000, v4
	s_xor_b32 s17, exec_lo, s17
	s_cbranch_execz .LBB17_82
; %bb.77:
	s_mov_b32 s18, exec_lo
                                        ; implicit-def: $vgpr1
	v_cmpx_lt_u32_e32 0x3c7fffff, v4
	s_xor_b32 s18, exec_lo, s18
; %bb.78:
	v_bfe_u32 v1, v0, 20, 1
	v_add3_u32 v1, v0, v1, 0x407ffff
	v_and_b32_e32 v4, 0xff00000, v1
	v_lshrrev_b32_e32 v1, 20, v1
	v_cmp_ne_u32_e32 vcc_lo, 0x7f00000, v4
	v_cndmask_b32_e32 v1, 0x7e, v1, vcc_lo
; %bb.79:
	s_andn2_saveexec_b32 s18, s18
; %bb.80:
	v_add_f32_e64 v1, 0x46800000, |v0|
; %bb.81:
	s_or_b32 exec_lo, exec_lo, s18
                                        ; implicit-def: $vgpr4
.LBB17_82:
	s_andn2_saveexec_b32 s17, s17
; %bb.83:
	v_mov_b32_e32 v1, 0x7f
	v_cmp_lt_u32_e32 vcc_lo, 0x7f800000, v4
	v_cndmask_b32_e32 v1, 0x7e, v1, vcc_lo
; %bb.84:
	s_or_b32 exec_lo, exec_lo, s17
	v_lshrrev_b32_e32 v4, 24, v0
	v_and_or_b32 v1, 0x80, v4, v1
	global_store_byte v[2:3], v1, off
.LBB17_85:
	s_mov_b32 s17, 0
.LBB17_86:
	s_andn2_b32 vcc_lo, exec_lo, s17
	s_cbranch_vccnz .LBB17_96
; %bb.87:
	v_and_b32_e32 v4, 0x7fffffff, v0
	s_mov_b32 s17, exec_lo
                                        ; implicit-def: $vgpr1
	v_cmpx_gt_u32_e32 0x47800000, v4
	s_xor_b32 s17, exec_lo, s17
	s_cbranch_execz .LBB17_93
; %bb.88:
	s_mov_b32 s18, exec_lo
                                        ; implicit-def: $vgpr1
	v_cmpx_lt_u32_e32 0x387fffff, v4
	s_xor_b32 s18, exec_lo, s18
; %bb.89:
	v_bfe_u32 v1, v0, 21, 1
	v_add3_u32 v1, v0, v1, 0x80fffff
	v_lshrrev_b32_e32 v1, 21, v1
; %bb.90:
	s_andn2_saveexec_b32 s18, s18
; %bb.91:
	v_add_f32_e64 v1, 0x43000000, |v0|
; %bb.92:
	s_or_b32 exec_lo, exec_lo, s18
                                        ; implicit-def: $vgpr4
.LBB17_93:
	s_andn2_saveexec_b32 s17, s17
; %bb.94:
	v_mov_b32_e32 v1, 0x7f
	v_cmp_lt_u32_e32 vcc_lo, 0x7f800000, v4
	v_cndmask_b32_e32 v1, 0x7c, v1, vcc_lo
; %bb.95:
	s_or_b32 exec_lo, exec_lo, s17
	v_lshrrev_b32_e32 v4, 24, v0
	v_and_or_b32 v1, 0x80, v4, v1
	global_store_byte v[2:3], v1, off
.LBB17_96:
	s_mov_b32 s18, 0
	s_mov_b32 s17, -1
.LBB17_97:
	s_andn2_b32 vcc_lo, exec_lo, s18
	s_cbranch_vccnz .LBB17_105
; %bb.98:
	s_cmp_gt_i32 s16, 14
	s_mov_b32 s18, -1
	s_cbranch_scc0 .LBB17_102
; %bb.99:
	s_cmp_eq_u32 s16, 15
	s_mov_b32 s0, -1
	s_cbranch_scc0 .LBB17_101
; %bb.100:
	v_bfe_u32 v1, v0, 16, 1
	v_cmp_o_f32_e32 vcc_lo, v0, v0
	v_mov_b32_e32 v4, 0x7fc0
	s_mov_b32 s17, -1
	s_mov_b32 s0, 0
	v_add3_u32 v1, v0, v1, 0x7fff
	v_cndmask_b32_sdwa v1, v4, v1, vcc_lo dst_sel:DWORD dst_unused:UNUSED_PAD src0_sel:DWORD src1_sel:WORD_1
	global_store_short v[2:3], v1, off
.LBB17_101:
	s_mov_b32 s18, 0
.LBB17_102:
	s_and_b32 vcc_lo, exec_lo, s18
	s_cbranch_vccz .LBB17_105
; %bb.103:
	s_cmp_eq_u32 s16, 11
	s_mov_b32 s0, -1
	s_cbranch_scc0 .LBB17_105
; %bb.104:
	v_cmp_neq_f32_e32 vcc_lo, 0, v0
	s_mov_b32 s0, 0
	s_mov_b32 s17, -1
	v_cndmask_b32_e64 v1, 0, 1, vcc_lo
	global_store_byte v[2:3], v1, off
.LBB17_105:
	s_branch .LBB17_24
.LBB17_106:
	s_and_b32 s7, 0xffff, s7
	s_mov_b32 s16, -1
	s_cmp_lt_i32 s7, 5
	s_cbranch_scc1 .LBB17_127
; %bb.107:
	s_cmp_lt_i32 s7, 8
	s_cbranch_scc1 .LBB17_117
; %bb.108:
	;; [unrolled: 3-line block ×3, first 2 shown]
	s_cmp_gt_i32 s7, 9
	s_cbranch_scc0 .LBB17_111
; %bb.110:
	v_cvt_f64_f32_e32 v[8:9], v0
	v_mov_b32_e32 v10, 0
	s_mov_b32 s16, 0
	v_mov_b32_e32 v11, v10
	global_store_dwordx4 v[2:3], v[8:11], off
.LBB17_111:
	s_andn2_b32 vcc_lo, exec_lo, s16
	s_cbranch_vccnz .LBB17_113
; %bb.112:
	v_mov_b32_e32 v1, 0
	global_store_dwordx2 v[2:3], v[0:1], off
.LBB17_113:
	s_mov_b32 s16, 0
.LBB17_114:
	s_andn2_b32 vcc_lo, exec_lo, s16
	s_cbranch_vccnz .LBB17_116
; %bb.115:
	v_cvt_f16_f32_e32 v1, v0
	v_and_b32_e32 v1, 0xffff, v1
	global_store_dword v[2:3], v1, off
.LBB17_116:
	s_mov_b32 s16, 0
.LBB17_117:
	s_andn2_b32 vcc_lo, exec_lo, s16
	s_cbranch_vccnz .LBB17_126
; %bb.118:
	s_cmp_lt_i32 s7, 6
	s_mov_b32 s16, -1
	s_cbranch_scc1 .LBB17_124
; %bb.119:
	s_cmp_gt_i32 s7, 6
	s_cbranch_scc0 .LBB17_121
; %bb.120:
	v_cvt_f64_f32_e32 v[4:5], v0
	s_mov_b32 s16, 0
	global_store_dwordx2 v[2:3], v[4:5], off
.LBB17_121:
	s_andn2_b32 vcc_lo, exec_lo, s16
	s_cbranch_vccnz .LBB17_123
; %bb.122:
	global_store_dword v[2:3], v0, off
.LBB17_123:
	s_mov_b32 s16, 0
.LBB17_124:
	s_andn2_b32 vcc_lo, exec_lo, s16
	s_cbranch_vccnz .LBB17_126
; %bb.125:
	v_cvt_f16_f32_e32 v1, v0
	global_store_short v[2:3], v1, off
.LBB17_126:
	s_mov_b32 s16, 0
.LBB17_127:
	s_andn2_b32 vcc_lo, exec_lo, s16
	s_cbranch_vccnz .LBB17_143
; %bb.128:
	s_cmp_lt_i32 s7, 2
	s_mov_b32 s16, -1
	s_cbranch_scc1 .LBB17_138
; %bb.129:
	s_cmp_lt_i32 s7, 3
	s_cbranch_scc1 .LBB17_135
; %bb.130:
	s_cmp_gt_i32 s7, 3
	s_cbranch_scc0 .LBB17_132
; %bb.131:
	v_trunc_f32_e32 v1, v0
	s_mov_b32 s16, 0
	v_mul_f32_e64 v4, 0x2f800000, |v1|
	v_floor_f32_e32 v4, v4
	v_fma_f32 v5, 0xcf800000, v4, |v1|
	v_ashrrev_i32_e32 v1, 31, v1
	v_cvt_u32_f32_e32 v4, v4
	v_cvt_u32_f32_e32 v5, v5
	v_xor_b32_e32 v6, v4, v1
	v_xor_b32_e32 v5, v5, v1
	v_sub_co_u32 v4, vcc_lo, v5, v1
	v_sub_co_ci_u32_e64 v5, null, v6, v1, vcc_lo
	global_store_dwordx2 v[2:3], v[4:5], off
.LBB17_132:
	s_andn2_b32 vcc_lo, exec_lo, s16
	s_cbranch_vccnz .LBB17_134
; %bb.133:
	v_cvt_i32_f32_e32 v1, v0
	global_store_dword v[2:3], v1, off
.LBB17_134:
	s_mov_b32 s16, 0
.LBB17_135:
	s_andn2_b32 vcc_lo, exec_lo, s16
	s_cbranch_vccnz .LBB17_137
; %bb.136:
	v_cvt_i32_f32_e32 v1, v0
	global_store_short v[2:3], v1, off
.LBB17_137:
	s_mov_b32 s16, 0
.LBB17_138:
	s_andn2_b32 vcc_lo, exec_lo, s16
	s_cbranch_vccnz .LBB17_143
; %bb.139:
	s_cmp_gt_i32 s7, 0
	s_mov_b32 s7, -1
	s_cbranch_scc0 .LBB17_141
; %bb.140:
	v_cvt_i32_f32_e32 v1, v0
	s_mov_b32 s7, 0
	global_store_byte v[2:3], v1, off
.LBB17_141:
	s_andn2_b32 vcc_lo, exec_lo, s7
	s_cbranch_vccnz .LBB17_143
; %bb.142:
	v_trunc_f32_e32 v0, v0
	v_mul_f32_e64 v1, 0x2f800000, |v0|
	v_floor_f32_e32 v1, v1
	v_fma_f32 v1, 0xcf800000, v1, |v0|
	v_ashrrev_i32_e32 v0, 31, v0
	v_cvt_u32_f32_e32 v1, v1
	v_xor_b32_e32 v1, v1, v0
	v_sub_nc_u32_e32 v0, v1, v0
	global_store_byte v[2:3], v0, off
.LBB17_143:
.LBB17_144:
	v_add_nc_u32_e32 v7, 0x80, v7
	s_mov_b32 s16, -1
	s_branch .LBB17_255
.LBB17_145:
	s_mov_b32 s13, -1
                                        ; implicit-def: $vgpr2
.LBB17_146:
	s_mov_b32 s16, 0
.LBB17_147:
	s_and_b32 vcc_lo, exec_lo, s16
	s_cbranch_vccz .LBB17_151
; %bb.148:
	s_cmp_eq_u32 s0, 29
	s_cbranch_scc0 .LBB17_150
; %bb.149:
	global_load_dwordx2 v[2:3], v[0:1], off
	s_mov_b32 s7, -1
	s_mov_b32 s13, 0
	s_mov_b32 s16, 0
	s_waitcnt vmcnt(0)
	v_ffbh_u32_e32 v4, v3
	v_min_u32_e32 v4, 32, v4
	v_lshlrev_b64 v[2:3], v4, v[2:3]
	v_min_u32_e32 v2, 1, v2
	v_or_b32_e32 v2, v3, v2
	v_sub_nc_u32_e32 v3, 32, v4
	v_cvt_f32_u32_e32 v2, v2
	v_ldexp_f32 v2, v2, v3
	s_branch .LBB17_152
.LBB17_150:
	s_mov_b32 s13, -1
                                        ; implicit-def: $vgpr2
.LBB17_151:
	s_mov_b32 s16, 0
.LBB17_152:
	s_and_b32 vcc_lo, exec_lo, s16
	s_cbranch_vccz .LBB17_170
; %bb.153:
	s_cmp_lt_i32 s0, 27
	s_cbranch_scc1 .LBB17_156
; %bb.154:
	s_cmp_gt_i32 s0, 27
	s_cbranch_scc0 .LBB17_157
; %bb.155:
	global_load_dword v2, v[0:1], off
	s_mov_b32 s7, 0
	s_waitcnt vmcnt(0)
	v_cvt_f32_u32_e32 v2, v2
	s_branch .LBB17_158
.LBB17_156:
	s_mov_b32 s7, -1
                                        ; implicit-def: $vgpr2
	s_branch .LBB17_161
.LBB17_157:
	s_mov_b32 s7, -1
                                        ; implicit-def: $vgpr2
.LBB17_158:
	s_andn2_b32 vcc_lo, exec_lo, s7
	s_cbranch_vccnz .LBB17_160
; %bb.159:
	global_load_ushort v2, v[0:1], off
	s_waitcnt vmcnt(0)
	v_cvt_f32_u32_e32 v2, v2
.LBB17_160:
	s_mov_b32 s7, 0
.LBB17_161:
	s_andn2_b32 vcc_lo, exec_lo, s7
	s_cbranch_vccnz .LBB17_169
; %bb.162:
	global_load_ubyte v3, v[0:1], off
	s_mov_b32 s7, 0
	s_mov_b32 s16, exec_lo
	s_waitcnt vmcnt(0)
	v_cmpx_lt_i16_e32 0x7f, v3
	s_xor_b32 s16, exec_lo, s16
	s_cbranch_execz .LBB17_182
; %bb.163:
	s_mov_b32 s7, -1
	s_mov_b32 s17, exec_lo
	v_cmpx_eq_u16_e32 0x80, v3
; %bb.164:
	s_xor_b32 s7, exec_lo, -1
; %bb.165:
	s_or_b32 exec_lo, exec_lo, s17
	s_and_b32 s7, s7, exec_lo
	s_or_saveexec_b32 s16, s16
	v_mov_b32_e32 v2, 0x7f800001
	s_xor_b32 exec_lo, exec_lo, s16
	s_cbranch_execnz .LBB17_183
.LBB17_166:
	s_or_b32 exec_lo, exec_lo, s16
	s_and_saveexec_b32 s16, s7
	s_cbranch_execz .LBB17_168
.LBB17_167:
	v_and_b32_e32 v2, 0xffff, v3
	v_lshlrev_b32_e32 v3, 24, v3
	v_and_b32_e32 v4, 7, v2
	v_bfe_u32 v8, v2, 3, 4
	v_and_b32_e32 v3, 0x80000000, v3
	v_ffbh_u32_e32 v5, v4
	v_cmp_eq_u32_e32 vcc_lo, 0, v8
	v_min_u32_e32 v5, 32, v5
	v_subrev_nc_u32_e32 v6, 28, v5
	v_sub_nc_u32_e32 v5, 29, v5
	v_lshlrev_b32_e32 v2, v6, v2
	v_cndmask_b32_e32 v5, v8, v5, vcc_lo
	v_and_b32_e32 v2, 7, v2
	v_cndmask_b32_e32 v2, v4, v2, vcc_lo
	v_lshl_add_u32 v4, v5, 23, 0x3b800000
	v_lshlrev_b32_e32 v2, 20, v2
	v_or3_b32 v2, v3, v4, v2
.LBB17_168:
	s_or_b32 exec_lo, exec_lo, s16
.LBB17_169:
	s_mov_b32 s7, -1
.LBB17_170:
	s_branch .LBB17_205
.LBB17_171:
	s_cmp_gt_i32 s0, 22
	s_cbranch_scc0 .LBB17_181
; %bb.172:
	s_cmp_lt_i32 s0, 24
	s_cbranch_scc1 .LBB17_184
; %bb.173:
	s_cmp_gt_i32 s0, 24
	s_cbranch_scc0 .LBB17_185
; %bb.174:
	global_load_ubyte v3, v[0:1], off
	s_mov_b32 s7, 0
	s_mov_b32 s16, exec_lo
	s_waitcnt vmcnt(0)
	v_cmpx_lt_i16_e32 0x7f, v3
	s_xor_b32 s16, exec_lo, s16
	s_cbranch_execz .LBB17_197
; %bb.175:
	s_mov_b32 s7, -1
	s_mov_b32 s17, exec_lo
	v_cmpx_eq_u16_e32 0x80, v3
; %bb.176:
	s_xor_b32 s7, exec_lo, -1
; %bb.177:
	s_or_b32 exec_lo, exec_lo, s17
	s_and_b32 s7, s7, exec_lo
	s_or_saveexec_b32 s16, s16
	v_mov_b32_e32 v2, 0x7f800001
	s_xor_b32 exec_lo, exec_lo, s16
	s_cbranch_execnz .LBB17_198
.LBB17_178:
	s_or_b32 exec_lo, exec_lo, s16
	s_and_saveexec_b32 s16, s7
	s_cbranch_execz .LBB17_180
.LBB17_179:
	v_and_b32_e32 v2, 0xffff, v3
	v_lshlrev_b32_e32 v3, 24, v3
	v_and_b32_e32 v4, 3, v2
	v_bfe_u32 v8, v2, 2, 5
	v_and_b32_e32 v3, 0x80000000, v3
	v_ffbh_u32_e32 v5, v4
	v_cmp_eq_u32_e32 vcc_lo, 0, v8
	v_min_u32_e32 v5, 32, v5
	v_subrev_nc_u32_e32 v6, 29, v5
	v_sub_nc_u32_e32 v5, 30, v5
	v_lshlrev_b32_e32 v2, v6, v2
	v_cndmask_b32_e32 v5, v8, v5, vcc_lo
	v_and_b32_e32 v2, 3, v2
	v_cndmask_b32_e32 v2, v4, v2, vcc_lo
	v_lshl_add_u32 v4, v5, 23, 0x37800000
	v_lshlrev_b32_e32 v2, 21, v2
	v_or3_b32 v2, v3, v4, v2
.LBB17_180:
	s_or_b32 exec_lo, exec_lo, s16
	s_mov_b32 s7, 0
	s_branch .LBB17_186
.LBB17_181:
	s_mov_b32 s16, -1
                                        ; implicit-def: $vgpr2
	s_branch .LBB17_192
.LBB17_182:
	s_or_saveexec_b32 s16, s16
	v_mov_b32_e32 v2, 0x7f800001
	s_xor_b32 exec_lo, exec_lo, s16
	s_cbranch_execz .LBB17_166
.LBB17_183:
	v_cmp_ne_u16_e32 vcc_lo, 0, v3
	v_mov_b32_e32 v2, 0
	s_andn2_b32 s7, s7, exec_lo
	s_and_b32 s17, vcc_lo, exec_lo
	s_or_b32 s7, s7, s17
	s_or_b32 exec_lo, exec_lo, s16
	s_and_saveexec_b32 s16, s7
	s_cbranch_execnz .LBB17_167
	s_branch .LBB17_168
.LBB17_184:
	s_mov_b32 s7, -1
                                        ; implicit-def: $vgpr2
	s_branch .LBB17_189
.LBB17_185:
	s_mov_b32 s7, -1
                                        ; implicit-def: $vgpr2
.LBB17_186:
	s_and_b32 vcc_lo, exec_lo, s7
	s_cbranch_vccz .LBB17_188
; %bb.187:
	global_load_ubyte v2, v[0:1], off
	s_waitcnt vmcnt(0)
	v_lshlrev_b32_e32 v2, 24, v2
	v_and_b32_e32 v3, 0x7f000000, v2
	v_ffbh_u32_e32 v4, v3
	v_add_nc_u32_e32 v6, 0x1000000, v3
	v_cmp_ne_u32_e32 vcc_lo, 0, v3
	v_min_u32_e32 v4, 32, v4
	v_sub_nc_u32_e64 v4, v4, 4 clamp
	v_lshlrev_b32_e32 v5, v4, v3
	v_lshlrev_b32_e32 v4, 23, v4
	v_lshrrev_b32_e32 v5, 4, v5
	v_sub_nc_u32_e32 v4, v5, v4
	v_ashrrev_i32_e32 v5, 8, v6
	v_add_nc_u32_e32 v4, 0x3c000000, v4
	v_and_or_b32 v4, 0x7f800000, v5, v4
	v_cndmask_b32_e32 v3, 0, v4, vcc_lo
	v_and_or_b32 v2, 0x80000000, v2, v3
.LBB17_188:
	s_mov_b32 s7, 0
.LBB17_189:
	s_andn2_b32 vcc_lo, exec_lo, s7
	s_cbranch_vccnz .LBB17_191
; %bb.190:
	global_load_ubyte v2, v[0:1], off
	s_waitcnt vmcnt(0)
	v_lshlrev_b32_e32 v3, 25, v2
	v_lshlrev_b16 v2, 8, v2
	v_lshrrev_b32_e32 v4, 4, v3
	v_and_or_b32 v5, 0x7f00, v2, 0.5
	v_cmp_gt_u32_e32 vcc_lo, 0x8000000, v3
	v_bfe_i32 v2, v2, 0, 16
	v_or_b32_e32 v4, 0x70000000, v4
	v_add_f32_e32 v5, -0.5, v5
	v_mul_f32_e32 v4, 0x7800000, v4
	v_cndmask_b32_e32 v3, v4, v5, vcc_lo
	v_and_or_b32 v2, 0x80000000, v2, v3
.LBB17_191:
	s_mov_b32 s16, 0
	s_mov_b32 s7, -1
.LBB17_192:
	s_andn2_b32 vcc_lo, exec_lo, s16
	s_cbranch_vccnz .LBB17_205
; %bb.193:
	s_cmp_gt_i32 s0, 14
	s_cbranch_scc0 .LBB17_196
; %bb.194:
	s_cmp_eq_u32 s0, 15
	s_cbranch_scc0 .LBB17_199
; %bb.195:
	global_load_ushort v2, v[0:1], off
	s_mov_b32 s7, -1
	s_mov_b32 s13, 0
	s_waitcnt vmcnt(0)
	v_lshlrev_b32_e32 v2, 16, v2
	s_branch .LBB17_200
.LBB17_196:
	s_mov_b32 s16, -1
                                        ; implicit-def: $vgpr2
	s_branch .LBB17_201
.LBB17_197:
	s_or_saveexec_b32 s16, s16
	v_mov_b32_e32 v2, 0x7f800001
	s_xor_b32 exec_lo, exec_lo, s16
	s_cbranch_execz .LBB17_178
.LBB17_198:
	v_cmp_ne_u16_e32 vcc_lo, 0, v3
	v_mov_b32_e32 v2, 0
	s_andn2_b32 s7, s7, exec_lo
	s_and_b32 s17, vcc_lo, exec_lo
	s_or_b32 s7, s7, s17
	s_or_b32 exec_lo, exec_lo, s16
	s_and_saveexec_b32 s16, s7
	s_cbranch_execnz .LBB17_179
	s_branch .LBB17_180
.LBB17_199:
	s_mov_b32 s13, -1
                                        ; implicit-def: $vgpr2
.LBB17_200:
	s_mov_b32 s16, 0
.LBB17_201:
	s_and_b32 vcc_lo, exec_lo, s16
	s_cbranch_vccz .LBB17_205
; %bb.202:
	s_cmp_eq_u32 s0, 11
	s_cbranch_scc0 .LBB17_204
; %bb.203:
	global_load_ubyte v2, v[0:1], off
	s_mov_b32 s13, 0
	s_mov_b32 s7, -1
	s_waitcnt vmcnt(0)
	v_cmp_ne_u16_e32 vcc_lo, 0, v2
	v_cndmask_b32_e64 v2, 0, 1.0, vcc_lo
	s_branch .LBB17_205
.LBB17_204:
	s_mov_b32 s13, -1
                                        ; implicit-def: $vgpr2
.LBB17_205:
	s_branch .LBB17_10
.LBB17_206:
	s_cmp_lt_i32 s0, 5
	s_cbranch_scc1 .LBB17_211
; %bb.207:
	s_cmp_lt_i32 s0, 8
	s_cbranch_scc1 .LBB17_212
; %bb.208:
	;; [unrolled: 3-line block ×3, first 2 shown]
	s_cmp_gt_i32 s0, 9
	s_cbranch_scc0 .LBB17_214
; %bb.210:
	global_load_dwordx2 v[2:3], v[0:1], off
	s_mov_b32 s7, 0
	s_waitcnt vmcnt(0)
	v_cvt_f32_f64_e32 v2, v[2:3]
	s_branch .LBB17_215
.LBB17_211:
                                        ; implicit-def: $vgpr2
	s_branch .LBB17_233
.LBB17_212:
	s_mov_b32 s7, -1
                                        ; implicit-def: $vgpr2
	s_branch .LBB17_221
.LBB17_213:
	s_mov_b32 s7, -1
                                        ; implicit-def: $vgpr2
	s_branch .LBB17_218
.LBB17_214:
	s_mov_b32 s7, -1
                                        ; implicit-def: $vgpr2
.LBB17_215:
	s_andn2_b32 vcc_lo, exec_lo, s7
	s_cbranch_vccnz .LBB17_217
; %bb.216:
	global_load_dword v2, v[0:1], off
.LBB17_217:
	s_mov_b32 s7, 0
.LBB17_218:
	s_andn2_b32 vcc_lo, exec_lo, s7
	s_cbranch_vccnz .LBB17_220
; %bb.219:
	global_load_dword v2, v[0:1], off
	s_waitcnt vmcnt(0)
	v_cvt_f32_f16_e32 v2, v2
.LBB17_220:
	s_mov_b32 s7, 0
.LBB17_221:
	s_andn2_b32 vcc_lo, exec_lo, s7
	s_cbranch_vccnz .LBB17_232
; %bb.222:
	s_cmp_lt_i32 s0, 6
	s_cbranch_scc1 .LBB17_225
; %bb.223:
	s_cmp_gt_i32 s0, 6
	s_cbranch_scc0 .LBB17_226
; %bb.224:
	global_load_dwordx2 v[2:3], v[0:1], off
	s_mov_b32 s7, 0
	s_waitcnt vmcnt(0)
	v_cvt_f32_f64_e32 v2, v[2:3]
	s_branch .LBB17_227
.LBB17_225:
	s_mov_b32 s7, -1
                                        ; implicit-def: $vgpr2
	s_branch .LBB17_230
.LBB17_226:
	s_mov_b32 s7, -1
                                        ; implicit-def: $vgpr2
.LBB17_227:
	s_andn2_b32 vcc_lo, exec_lo, s7
	s_cbranch_vccnz .LBB17_229
; %bb.228:
	global_load_dword v2, v[0:1], off
.LBB17_229:
	s_mov_b32 s7, 0
.LBB17_230:
	s_andn2_b32 vcc_lo, exec_lo, s7
	s_cbranch_vccnz .LBB17_232
; %bb.231:
	global_load_ushort v2, v[0:1], off
	s_waitcnt vmcnt(0)
	v_cvt_f32_f16_e32 v2, v2
.LBB17_232:
	s_cbranch_execnz .LBB17_252
.LBB17_233:
	s_cmp_lt_i32 s0, 2
	s_cbranch_scc1 .LBB17_237
; %bb.234:
	s_cmp_lt_i32 s0, 3
	s_cbranch_scc1 .LBB17_238
; %bb.235:
	s_cmp_gt_i32 s0, 3
	s_cbranch_scc0 .LBB17_239
; %bb.236:
	global_load_dwordx2 v[2:3], v[0:1], off
	s_mov_b32 s7, 0
	s_waitcnt vmcnt(0)
	v_xor_b32_e32 v4, v2, v3
	v_ffbh_i32_e32 v5, v3
	v_ashrrev_i32_e32 v4, 31, v4
	v_add_nc_u32_e32 v5, -1, v5
	v_add_nc_u32_e32 v4, 32, v4
	v_min_u32_e32 v4, v5, v4
	v_lshlrev_b64 v[2:3], v4, v[2:3]
	v_min_u32_e32 v2, 1, v2
	v_or_b32_e32 v2, v3, v2
	v_sub_nc_u32_e32 v3, 32, v4
	v_cvt_f32_i32_e32 v2, v2
	v_ldexp_f32 v2, v2, v3
	s_branch .LBB17_240
.LBB17_237:
	s_mov_b32 s7, -1
                                        ; implicit-def: $vgpr2
	s_branch .LBB17_246
.LBB17_238:
	s_mov_b32 s7, -1
                                        ; implicit-def: $vgpr2
	s_branch .LBB17_243
.LBB17_239:
	s_mov_b32 s7, -1
                                        ; implicit-def: $vgpr2
.LBB17_240:
	s_andn2_b32 vcc_lo, exec_lo, s7
	s_cbranch_vccnz .LBB17_242
; %bb.241:
	global_load_dword v2, v[0:1], off
	s_waitcnt vmcnt(0)
	v_cvt_f32_i32_e32 v2, v2
.LBB17_242:
	s_mov_b32 s7, 0
.LBB17_243:
	s_andn2_b32 vcc_lo, exec_lo, s7
	s_cbranch_vccnz .LBB17_245
; %bb.244:
	global_load_sshort v2, v[0:1], off
	s_waitcnt vmcnt(0)
	v_cvt_f32_i32_e32 v2, v2
.LBB17_245:
	s_mov_b32 s7, 0
.LBB17_246:
	s_andn2_b32 vcc_lo, exec_lo, s7
	s_cbranch_vccnz .LBB17_252
; %bb.247:
	s_cmp_gt_i32 s0, 0
	s_mov_b32 s0, 0
	s_cbranch_scc0 .LBB17_249
; %bb.248:
	global_load_sbyte v2, v[0:1], off
	s_waitcnt vmcnt(0)
	v_cvt_f32_i32_e32 v2, v2
	s_branch .LBB17_250
.LBB17_249:
	s_mov_b32 s0, -1
                                        ; implicit-def: $vgpr2
.LBB17_250:
	s_andn2_b32 vcc_lo, exec_lo, s0
	s_cbranch_vccnz .LBB17_252
; %bb.251:
	global_load_ubyte v0, v[0:1], off
	s_waitcnt vmcnt(0)
	v_cvt_f32_ubyte0_e32 v2, v0
.LBB17_252:
	s_branch .LBB17_11
.LBB17_253:
	s_mov_b32 s0, 0
.LBB17_254:
	s_mov_b32 s16, 0
                                        ; implicit-def: $vgpr7
.LBB17_255:
	s_and_b32 s7, s0, exec_lo
	s_and_b32 s13, s13, exec_lo
	s_orn2_b32 s17, s16, exec_lo
.LBB17_256:
	s_or_b32 exec_lo, exec_lo, s14
	s_mov_b32 s16, 0
	s_mov_b32 s0, 0
                                        ; implicit-def: $vgpr0_vgpr1
                                        ; implicit-def: $vgpr4
	s_and_saveexec_b32 s14, s17
	s_cbranch_execz .LBB17_265
; %bb.257:
	s_mov_b32 s0, -1
	s_mov_b32 s15, s13
	s_mov_b32 s16, s7
	s_mov_b32 s17, exec_lo
	v_cmpx_gt_i32_e64 s12, v7
	s_cbranch_execz .LBB17_523
; %bb.258:
	v_mul_lo_u32 v0, v7, s3
	s_and_b32 s0, 0xffff, s5
	s_cmp_lt_i32 s0, 11
	v_ashrrev_i32_e32 v1, 31, v0
	v_add_co_u32 v0, vcc_lo, s10, v0
	v_add_co_ci_u32_e64 v1, null, s11, v1, vcc_lo
	s_cbranch_scc1 .LBB17_268
; %bb.259:
	s_cmp_gt_i32 s0, 25
	s_cbranch_scc0 .LBB17_281
; %bb.260:
	s_cmp_gt_i32 s0, 28
	s_cbranch_scc0 .LBB17_283
	;; [unrolled: 3-line block ×4, first 2 shown]
; %bb.263:
	s_cmp_eq_u32 s0, 46
	s_mov_b32 s18, 0
	s_cbranch_scc0 .LBB17_293
; %bb.264:
	global_load_dword v2, v[0:1], off
	s_mov_b32 s16, -1
	s_mov_b32 s15, 0
	s_waitcnt vmcnt(0)
	v_lshlrev_b32_e32 v2, 16, v2
	s_branch .LBB17_295
.LBB17_265:
	s_or_b32 exec_lo, exec_lo, s14
	s_mov_b32 s12, 0
	s_and_saveexec_b32 s14, s13
	s_cbranch_execnz .LBB17_875
.LBB17_266:
	s_or_b32 exec_lo, exec_lo, s14
	s_and_saveexec_b32 s13, s15
	s_xor_b32 s13, exec_lo, s13
	s_cbranch_execz .LBB17_876
.LBB17_267:
	global_load_ubyte v2, v[0:1], off
	s_or_b32 s0, s0, exec_lo
	s_waitcnt vmcnt(0)
	v_cmp_ne_u16_e32 vcc_lo, 0, v2
	v_cndmask_b32_e64 v4, 0, 1.0, vcc_lo
	s_or_b32 exec_lo, exec_lo, s13
	s_and_saveexec_b32 s13, s16
	s_cbranch_execz .LBB17_922
	s_branch .LBB17_877
.LBB17_268:
	s_mov_b32 s16, 0
	s_mov_b32 s15, s13
                                        ; implicit-def: $vgpr2
	s_cbranch_execnz .LBB17_472
.LBB17_269:
	s_andn2_b32 vcc_lo, exec_lo, s16
	s_cbranch_vccnz .LBB17_520
.LBB17_270:
	s_waitcnt vmcnt(0)
	v_cmp_ge_f32_e64 s0, 0x41000000, |v2|
	v_mul_f32_e64 v1, 0x3fb8aa3b, |v2|
                                        ; implicit-def: $vgpr0
	s_and_saveexec_b32 s16, s0
	s_xor_b32 s0, exec_lo, s16
	s_cbranch_execz .LBB17_272
; %bb.271:
	v_fma_f32 v0, |v2|, 0.5, -2.0
	s_mov_b32 s16, 0xa2a2e5b9
	v_rndne_f32_e32 v5, v1
	v_fma_f32 v6, 0x3fb8aa3b, |v2|, -v1
	v_cmp_ngt_f32_e64 vcc_lo, 0xc2ce8ed0, |v2|
	v_fmaak_f32 v3, s16, v0, 0x24199b15
	v_sub_f32_e32 v1, v1, v5
	v_fma_f32 v6, 0x32a5705f, |v2|, v6
	v_cvt_i32_f32_e32 v5, v5
	v_fmaak_f32 v4, v0, v3, 0x22a2e5b9
	v_add_f32_e32 v1, v1, v6
	v_add_f32_e32 v4, 0xa58c275c, v4
	v_exp_f32_e32 v1, v1
	v_fma_f32 v3, v0, v4, -v3
	v_add_f32_e32 v3, 0x26f736c5, v3
	v_ldexp_f32 v1, v1, v5
	v_fma_f32 v4, v0, v3, -v4
	v_cndmask_b32_e32 v1, 0, v1, vcc_lo
	v_cmp_nlt_f32_e64 vcc_lo, 0x42b17218, |v2|
	v_add_f32_e32 v4, 0xa8528116, v4
                                        ; implicit-def: $vgpr2
	v_cndmask_b32_e32 v1, 0x7f800000, v1, vcc_lo
	v_fma_f32 v3, v0, v4, -v3
	v_add_f32_e32 v3, 0x29acda32, v3
	v_fma_f32 v4, v0, v3, -v4
	v_add_f32_e32 v4, 0xab08b263, v4
	v_fma_f32 v3, v0, v4, -v3
	v_add_f32_e32 v3, 0x2c4ff17f, v3
	v_fma_f32 v4, v0, v3, -v4
	v_add_f32_e32 v4, 0xad97e4ac, v4
	v_fma_f32 v3, v0, v4, -v3
	v_add_f32_e32 v3, 0x2ed4c5f6, v3
	v_fma_f32 v4, v0, v3, -v4
	v_add_f32_e32 v4, 0xb00ea7f1, v4
	v_fma_f32 v3, v0, v4, -v3
	v_add_f32_e32 v3, 0x3136c81d, v3
	v_fma_f32 v4, v0, v3, -v4
	v_add_f32_e32 v4, 0xb25f57b4, v4
	v_fma_f32 v3, v0, v4, -v3
	v_add_f32_e32 v3, 0x3381dbb5, v3
	v_fma_f32 v4, v0, v3, -v4
	v_add_f32_e32 v4, 0xb48f631c, v4
	v_fma_f32 v3, v0, v4, -v3
	v_add_f32_e32 v3, 0x3595f925, v3
	v_fma_f32 v4, v0, v3, -v4
	v_add_f32_e32 v4, 0xb694337e, v4
	v_fma_f32 v3, v0, v4, -v3
	v_add_f32_e32 v3, 0x3789fac6, v3
	v_fma_f32 v4, v0, v3, -v4
	v_add_f32_e32 v4, 0xb8715933, v4
	v_fma_f32 v3, v0, v4, -v3
	v_add_f32_e32 v3, 0x3945a8dc, v3
	v_fma_f32 v4, v0, v3, -v4
	v_add_f32_e32 v4, 0xba1717e9, v4
	v_fma_f32 v3, v0, v4, -v3
	v_add_f32_e32 v3, 0x3ad6e3ac, v3
	v_fma_f32 v4, v0, v3, -v4
	v_add_f32_e32 v4, 0xbb8db2f1, v4
	v_fma_f32 v3, v0, v4, -v3
	v_add_f32_e32 v3, 0x3c2ccb10, v3
	v_fma_f32 v4, v0, v3, -v4
	v_add_f32_e32 v4, 0xbcc274f8, v4
	v_fma_f32 v3, v0, v4, -v3
	v_add_f32_e32 v3, 0x3d49f456, v3
	v_fma_f32 v4, v0, v3, -v4
	v_add_f32_e32 v4, 0xbdc25b82, v4
	v_fma_f32 v3, v0, v4, -v3
	v_add_f32_e32 v3, 0x3e2fbd64, v3
	v_fma_f32 v4, v0, v3, -v4
	v_add_f32_e32 v4, 0xbe9bff5e, v4
	v_fma_f32 v0, v0, v4, -v3
	v_add_f32_e32 v0, 0x3f2d4275, v0
	v_sub_f32_e32 v0, v0, v3
	v_mul_f32_e32 v0, 0.5, v0
	v_mul_f32_e32 v0, v1, v0
                                        ; implicit-def: $vgpr1
.LBB17_272:
	s_andn2_saveexec_b32 s16, s0
	s_cbranch_execz .LBB17_274
; %bb.273:
	v_and_b32_e32 v0, 0x7fffffff, v2
	s_mov_b32 s0, 0xa3056dbb
	v_fma_f32 v8, 0x3fb8aa3b, |v2|, -v1
	v_div_scale_f32 v3, null, v0, v0, 0x42000000
	v_div_scale_f32 v0, vcc_lo, 0x42000000, v0, 0x42000000
	v_fma_f32 v8, 0x32a5705f, |v2|, v8
	v_rcp_f32_e32 v4, v3
	v_fma_f32 v5, -v3, v4, 1.0
	v_fmac_f32_e32 v4, v5, v4
	v_mul_f32_e32 v5, v0, v4
	v_fma_f32 v6, -v3, v5, v0
	v_fmac_f32_e32 v5, v6, v4
	v_rndne_f32_e32 v6, v1
	v_fma_f32 v0, -v3, v5, v0
	v_sub_f32_e32 v1, v1, v6
	v_cvt_i32_f32_e32 v6, v6
	v_div_fmas_f32 v0, v0, v4, v5
	v_mul_f32_e64 v5, 0x4f800000, |v2|
	v_cmp_gt_f32_e64 vcc_lo, 0xf800000, |v2|
	v_add_f32_e32 v1, v1, v8
	v_div_fixup_f32 v0, v0, |v2|, 0x42000000
	v_cndmask_b32_e64 v5, |v2|, v5, vcc_lo
	v_exp_f32_e32 v1, v1
	v_add_f32_e32 v0, -2.0, v0
	v_sqrt_f32_e32 v9, v5
	v_fmaak_f32 v3, s0, v0, 0xa2b236d3
	v_ldexp_f32 v1, v1, v6
	v_fmaak_f32 v4, v0, v3, 0x23056dbb
	v_add_nc_u32_e32 v8, -1, v9
	v_add_nc_u32_e32 v10, 1, v9
	v_add_f32_e32 v4, 0x244df0c1, v4
	v_fma_f32 v11, -v8, v9, v5
	v_fma_f32 v12, -v10, v9, v5
	v_fma_f32 v3, v0, v4, -v3
	v_cmp_ge_f32_e64 s0, 0, v11
	v_add_f32_e32 v3, 0x241f9ee8, v3
	v_cndmask_b32_e64 v8, v9, v8, s0
	v_cmp_lt_f32_e64 s0, 0, v12
	v_fma_f32 v4, v0, v3, -v4
	v_add_f32_e32 v4, 0xa5a3005d, v4
	v_fma_f32 v3, v0, v4, -v3
	v_add_f32_e32 v3, 0xa5c5773f, v3
	;; [unrolled: 2-line block ×20, first 2 shown]
	v_fma_f32 v0, v0, v3, -v4
	v_cndmask_b32_e64 v3, v8, v10, s0
	v_cmp_ngt_f32_e64 s0, 0xc2ce8ed0, |v2|
	v_add_f32_e32 v0, 0x3f4df315, v0
	v_mul_f32_e32 v6, 0x37800000, v3
	v_cndmask_b32_e64 v1, 0, v1, s0
	v_cmp_nlt_f32_e64 s0, 0x42b17218, |v2|
	v_sub_f32_e32 v0, v0, v4
	v_cndmask_b32_e32 v2, v3, v6, vcc_lo
	v_cmp_class_f32_e64 vcc_lo, v5, 0x260
	v_cndmask_b32_e64 v1, 0x7f800000, v1, s0
	v_mul_f32_e32 v0, 0.5, v0
	v_cndmask_b32_e32 v2, v2, v5, vcc_lo
	v_mul_f32_e32 v0, v1, v0
	v_div_scale_f32 v1, null, v2, v2, v0
	v_rcp_f32_e32 v3, v1
	v_fma_f32 v4, -v1, v3, 1.0
	v_fmac_f32_e32 v3, v4, v3
	v_div_scale_f32 v4, vcc_lo, v0, v2, v0
	v_mul_f32_e32 v5, v4, v3
	v_fma_f32 v6, -v1, v5, v4
	v_fmac_f32_e32 v5, v6, v3
	v_fma_f32 v1, -v1, v5, v4
	v_div_fmas_f32 v1, v1, v3, v5
	v_div_fixup_f32 v0, v1, v2, v0
.LBB17_274:
	s_or_b32 exec_lo, exec_lo, s16
	v_mul_lo_u32 v1, v7, s2
	s_and_b32 s16, s1, 0xff
	s_cmp_lt_i32 s16, 11
	v_ashrrev_i32_e32 v3, 31, v1
	v_add_co_u32 v2, vcc_lo, s8, v1
	v_add_co_ci_u32_e64 v3, null, s9, v3, vcc_lo
	s_cbranch_scc1 .LBB17_282
; %bb.275:
	s_and_b32 s18, 0xffff, s16
	s_cmp_gt_i32 s18, 25
	s_cbranch_scc0 .LBB17_284
; %bb.276:
	s_cmp_gt_i32 s18, 28
	s_cbranch_scc0 .LBB17_286
; %bb.277:
	;; [unrolled: 3-line block ×4, first 2 shown]
	s_mov_b32 s20, 0
	s_mov_b32 s0, -1
	s_cmp_eq_u32 s18, 46
	s_mov_b32 s19, 0
	s_cbranch_scc0 .LBB17_299
; %bb.280:
	v_bfe_u32 v1, v0, 16, 1
	v_cmp_o_f32_e32 vcc_lo, v0, v0
	v_mov_b32_e32 v4, 0x7fc0
	s_mov_b32 s19, -1
	s_mov_b32 s0, 0
	v_add3_u32 v1, v0, v1, 0x7fff
	v_cndmask_b32_sdwa v1, v4, v1, vcc_lo dst_sel:DWORD dst_unused:UNUSED_PAD src0_sel:DWORD src1_sel:WORD_1
	global_store_dword v[2:3], v1, off
	s_branch .LBB17_299
.LBB17_281:
	s_mov_b32 s18, -1
	s_mov_b32 s16, 0
	s_mov_b32 s15, s13
                                        ; implicit-def: $vgpr2
	s_branch .LBB17_436
.LBB17_282:
	s_mov_b32 s18, -1
	s_mov_b32 s19, 0
	s_mov_b32 s0, s7
	s_branch .LBB17_368
.LBB17_283:
	s_mov_b32 s18, -1
	s_mov_b32 s16, 0
	s_mov_b32 s15, s13
                                        ; implicit-def: $vgpr2
	s_branch .LBB17_417
.LBB17_284:
	s_mov_b32 s20, -1
	s_mov_b32 s19, 0
	s_mov_b32 s0, s7
	s_branch .LBB17_326
.LBB17_285:
	s_mov_b32 s18, -1
	s_mov_b32 s16, 0
	s_mov_b32 s15, s13
                                        ; implicit-def: $vgpr2
	s_branch .LBB17_412
.LBB17_286:
	s_mov_b32 s20, -1
	s_mov_b32 s19, 0
	s_mov_b32 s0, s7
	s_branch .LBB17_309
.LBB17_287:
	s_andn2_saveexec_b32 s19, s19
	s_cbranch_execz .LBB17_58
.LBB17_288:
	v_add_f32_e64 v1, 0x46000000, |v0|
	s_andn2_b32 s18, s18, exec_lo
	v_and_b32_e32 v1, 0xff, v1
	v_cmp_ne_u32_e32 vcc_lo, 0, v1
	s_and_b32 s20, vcc_lo, exec_lo
	s_or_b32 s18, s18, s20
	s_or_b32 exec_lo, exec_lo, s19
	v_mov_b32_e32 v4, 0
	s_and_saveexec_b32 s19, s18
	s_cbranch_execnz .LBB17_59
	s_branch .LBB17_60
.LBB17_289:
	s_mov_b32 s18, -1
	s_mov_b32 s16, 0
	s_mov_b32 s15, s13
	s_branch .LBB17_294
.LBB17_290:
	s_mov_b32 s20, -1
	s_mov_b32 s19, 0
	s_mov_b32 s0, s7
	s_branch .LBB17_305
.LBB17_291:
	s_andn2_saveexec_b32 s19, s19
	s_cbranch_execz .LBB17_71
.LBB17_292:
	v_add_f32_e64 v1, 0x42800000, |v0|
	s_andn2_b32 s18, s18, exec_lo
	v_and_b32_e32 v1, 0xff, v1
	v_cmp_ne_u32_e32 vcc_lo, 0, v1
	s_and_b32 s20, vcc_lo, exec_lo
	s_or_b32 s18, s18, s20
	s_or_b32 exec_lo, exec_lo, s19
	v_mov_b32_e32 v4, 0
	s_and_saveexec_b32 s19, s18
	s_cbranch_execnz .LBB17_72
	s_branch .LBB17_73
.LBB17_293:
	s_mov_b32 s15, -1
	s_mov_b32 s16, 0
.LBB17_294:
                                        ; implicit-def: $vgpr2
.LBB17_295:
	s_and_b32 vcc_lo, exec_lo, s18
	s_cbranch_vccz .LBB17_411
; %bb.296:
	s_cmp_eq_u32 s0, 44
	s_cbranch_scc0 .LBB17_410
; %bb.297:
	global_load_ubyte v2, v[0:1], off
	s_mov_b32 s15, 0
	s_mov_b32 s16, -1
	s_waitcnt vmcnt(0)
	v_lshlrev_b32_e32 v3, 23, v2
	v_cmp_ne_u32_e32 vcc_lo, 0xff, v2
	v_cndmask_b32_e32 v3, 0x7f800001, v3, vcc_lo
	v_cmp_ne_u32_e32 vcc_lo, 0, v2
	v_cndmask_b32_e32 v2, 0x400000, v3, vcc_lo
	s_branch .LBB17_411
.LBB17_298:
	s_mov_b32 s20, -1
	s_mov_b32 s19, 0
	s_mov_b32 s0, s7
.LBB17_299:
	s_and_b32 vcc_lo, exec_lo, s20
	s_cbranch_vccz .LBB17_304
; %bb.300:
	s_cmp_eq_u32 s18, 44
	s_mov_b32 s0, -1
	s_cbranch_scc0 .LBB17_304
; %bb.301:
	v_bfe_u32 v4, v0, 23, 8
	v_mov_b32_e32 v1, 0xff
	s_mov_b32 s19, exec_lo
	v_cmpx_ne_u32_e32 0xff, v4
	s_cbranch_execz .LBB17_303
; %bb.302:
	v_and_b32_e32 v1, 0x400000, v0
	v_and_or_b32 v4, 0x3fffff, v0, v4
	v_cmp_ne_u32_e32 vcc_lo, 0, v1
	v_cmp_ne_u32_e64 s0, 0, v4
	v_lshrrev_b32_e32 v1, 23, v0
	s_and_b32 s0, vcc_lo, s0
	v_cndmask_b32_e64 v4, 0, 1, s0
	v_add_nc_u32_e32 v1, v1, v4
.LBB17_303:
	s_or_b32 exec_lo, exec_lo, s19
	s_mov_b32 s19, -1
	s_mov_b32 s0, 0
	global_store_byte v[2:3], v1, off
.LBB17_304:
	s_mov_b32 s20, 0
.LBB17_305:
	s_and_b32 vcc_lo, exec_lo, s20
	s_cbranch_vccz .LBB17_308
; %bb.306:
	s_cmp_eq_u32 s18, 29
	s_mov_b32 s0, -1
	s_cbranch_scc0 .LBB17_308
; %bb.307:
	v_trunc_f32_e32 v1, v0
	s_mov_b32 s19, -1
	s_mov_b32 s0, 0
	s_mov_b32 s20, 0
	v_mul_f32_e32 v4, 0x2f800000, v1
	v_floor_f32_e32 v4, v4
	v_fmamk_f32 v1, v4, 0xcf800000, v1
	v_cvt_u32_f32_e32 v5, v4
	v_cvt_u32_f32_e32 v4, v1
	global_store_dwordx2 v[2:3], v[4:5], off
	s_branch .LBB17_309
.LBB17_308:
	s_mov_b32 s20, 0
.LBB17_309:
	s_and_b32 vcc_lo, exec_lo, s20
	s_cbranch_vccz .LBB17_325
; %bb.310:
	s_cmp_lt_i32 s18, 27
	s_mov_b32 s19, -1
	s_cbranch_scc1 .LBB17_316
; %bb.311:
	v_cvt_u32_f32_e32 v1, v0
	s_cmp_gt_i32 s18, 27
	s_cbranch_scc0 .LBB17_313
; %bb.312:
	s_mov_b32 s19, 0
	global_store_dword v[2:3], v1, off
.LBB17_313:
	s_andn2_b32 vcc_lo, exec_lo, s19
	s_cbranch_vccnz .LBB17_315
; %bb.314:
	global_store_short v[2:3], v1, off
.LBB17_315:
	s_mov_b32 s19, 0
.LBB17_316:
	s_andn2_b32 vcc_lo, exec_lo, s19
	s_cbranch_vccnz .LBB17_324
; %bb.317:
	v_and_b32_e32 v1, 0x7fffffff, v0
	v_mov_b32_e32 v4, 0x80
	s_mov_b32 s19, exec_lo
	v_cmpx_gt_u32_e32 0x43800000, v1
	s_cbranch_execz .LBB17_323
; %bb.318:
	v_cmp_lt_u32_e32 vcc_lo, 0x3bffffff, v1
	s_mov_b32 s20, 0
                                        ; implicit-def: $vgpr1
	s_and_saveexec_b32 s21, vcc_lo
	s_xor_b32 s21, exec_lo, s21
	s_cbranch_execz .LBB17_536
; %bb.319:
	v_bfe_u32 v1, v0, 20, 1
	s_mov_b32 s20, exec_lo
	v_add3_u32 v1, v0, v1, 0x487ffff
	v_lshrrev_b32_e32 v1, 20, v1
	s_andn2_saveexec_b32 s21, s21
	s_cbranch_execnz .LBB17_537
.LBB17_320:
	s_or_b32 exec_lo, exec_lo, s21
	v_mov_b32_e32 v4, 0
	s_and_saveexec_b32 s21, s20
.LBB17_321:
	v_lshrrev_b32_e32 v4, 24, v0
	v_and_or_b32 v4, 0x80, v4, v1
.LBB17_322:
	s_or_b32 exec_lo, exec_lo, s21
.LBB17_323:
	s_or_b32 exec_lo, exec_lo, s19
	global_store_byte v[2:3], v4, off
.LBB17_324:
	s_mov_b32 s19, -1
.LBB17_325:
	s_mov_b32 s20, 0
.LBB17_326:
	s_and_b32 vcc_lo, exec_lo, s20
	s_cbranch_vccz .LBB17_367
; %bb.327:
	s_cmp_gt_i32 s18, 22
	s_mov_b32 s20, -1
	s_cbranch_scc0 .LBB17_359
; %bb.328:
	s_cmp_lt_i32 s18, 24
	s_mov_b32 s19, -1
	s_cbranch_scc1 .LBB17_348
; %bb.329:
	s_cmp_gt_i32 s18, 24
	s_cbranch_scc0 .LBB17_337
; %bb.330:
	v_and_b32_e32 v1, 0x7fffffff, v0
	v_mov_b32_e32 v4, 0x80
	s_mov_b32 s19, exec_lo
	v_cmpx_gt_u32_e32 0x47800000, v1
	s_cbranch_execz .LBB17_336
; %bb.331:
	v_cmp_lt_u32_e32 vcc_lo, 0x37ffffff, v1
	s_mov_b32 s20, 0
                                        ; implicit-def: $vgpr1
	s_and_saveexec_b32 s21, vcc_lo
	s_xor_b32 s21, exec_lo, s21
	s_cbranch_execz .LBB17_539
; %bb.332:
	v_bfe_u32 v1, v0, 21, 1
	s_mov_b32 s20, exec_lo
	v_add3_u32 v1, v0, v1, 0x88fffff
	v_lshrrev_b32_e32 v1, 21, v1
	s_andn2_saveexec_b32 s21, s21
	s_cbranch_execnz .LBB17_540
.LBB17_333:
	s_or_b32 exec_lo, exec_lo, s21
	v_mov_b32_e32 v4, 0
	s_and_saveexec_b32 s21, s20
.LBB17_334:
	v_lshrrev_b32_e32 v4, 24, v0
	v_and_or_b32 v4, 0x80, v4, v1
.LBB17_335:
	s_or_b32 exec_lo, exec_lo, s21
.LBB17_336:
	s_or_b32 exec_lo, exec_lo, s19
	s_mov_b32 s19, 0
	global_store_byte v[2:3], v4, off
.LBB17_337:
	s_and_b32 vcc_lo, exec_lo, s19
	s_cbranch_vccz .LBB17_347
; %bb.338:
	v_and_b32_e32 v4, 0x7fffffff, v0
	s_mov_b32 s19, exec_lo
                                        ; implicit-def: $vgpr1
	v_cmpx_gt_u32_e32 0x43f00000, v4
	s_xor_b32 s19, exec_lo, s19
	s_cbranch_execz .LBB17_344
; %bb.339:
	s_mov_b32 s20, exec_lo
                                        ; implicit-def: $vgpr1
	v_cmpx_lt_u32_e32 0x3c7fffff, v4
	s_xor_b32 s20, exec_lo, s20
; %bb.340:
	v_bfe_u32 v1, v0, 20, 1
	v_add3_u32 v1, v0, v1, 0x407ffff
	v_and_b32_e32 v4, 0xff00000, v1
	v_lshrrev_b32_e32 v1, 20, v1
	v_cmp_ne_u32_e32 vcc_lo, 0x7f00000, v4
	v_cndmask_b32_e32 v1, 0x7e, v1, vcc_lo
; %bb.341:
	s_andn2_saveexec_b32 s20, s20
; %bb.342:
	v_add_f32_e64 v1, 0x46800000, |v0|
; %bb.343:
	s_or_b32 exec_lo, exec_lo, s20
                                        ; implicit-def: $vgpr4
.LBB17_344:
	s_andn2_saveexec_b32 s19, s19
; %bb.345:
	v_mov_b32_e32 v1, 0x7f
	v_cmp_lt_u32_e32 vcc_lo, 0x7f800000, v4
	v_cndmask_b32_e32 v1, 0x7e, v1, vcc_lo
; %bb.346:
	s_or_b32 exec_lo, exec_lo, s19
	v_lshrrev_b32_e32 v4, 24, v0
	v_and_or_b32 v1, 0x80, v4, v1
	global_store_byte v[2:3], v1, off
.LBB17_347:
	s_mov_b32 s19, 0
.LBB17_348:
	s_andn2_b32 vcc_lo, exec_lo, s19
	s_cbranch_vccnz .LBB17_358
; %bb.349:
	v_and_b32_e32 v4, 0x7fffffff, v0
	s_mov_b32 s19, exec_lo
                                        ; implicit-def: $vgpr1
	v_cmpx_gt_u32_e32 0x47800000, v4
	s_xor_b32 s19, exec_lo, s19
	s_cbranch_execz .LBB17_355
; %bb.350:
	s_mov_b32 s20, exec_lo
                                        ; implicit-def: $vgpr1
	v_cmpx_lt_u32_e32 0x387fffff, v4
	s_xor_b32 s20, exec_lo, s20
; %bb.351:
	v_bfe_u32 v1, v0, 21, 1
	v_add3_u32 v1, v0, v1, 0x80fffff
	v_lshrrev_b32_e32 v1, 21, v1
; %bb.352:
	s_andn2_saveexec_b32 s20, s20
; %bb.353:
	v_add_f32_e64 v1, 0x43000000, |v0|
; %bb.354:
	s_or_b32 exec_lo, exec_lo, s20
                                        ; implicit-def: $vgpr4
.LBB17_355:
	s_andn2_saveexec_b32 s19, s19
; %bb.356:
	v_mov_b32_e32 v1, 0x7f
	v_cmp_lt_u32_e32 vcc_lo, 0x7f800000, v4
	v_cndmask_b32_e32 v1, 0x7c, v1, vcc_lo
; %bb.357:
	s_or_b32 exec_lo, exec_lo, s19
	v_lshrrev_b32_e32 v4, 24, v0
	v_and_or_b32 v1, 0x80, v4, v1
	global_store_byte v[2:3], v1, off
.LBB17_358:
	s_mov_b32 s20, 0
	s_mov_b32 s19, -1
.LBB17_359:
	s_andn2_b32 vcc_lo, exec_lo, s20
	s_cbranch_vccnz .LBB17_367
; %bb.360:
	s_cmp_gt_i32 s18, 14
	s_mov_b32 s20, -1
	s_cbranch_scc0 .LBB17_364
; %bb.361:
	s_cmp_eq_u32 s18, 15
	s_mov_b32 s0, -1
	s_cbranch_scc0 .LBB17_363
; %bb.362:
	v_bfe_u32 v1, v0, 16, 1
	v_cmp_o_f32_e32 vcc_lo, v0, v0
	v_mov_b32_e32 v4, 0x7fc0
	s_mov_b32 s19, -1
	s_mov_b32 s0, 0
	v_add3_u32 v1, v0, v1, 0x7fff
	v_cndmask_b32_sdwa v1, v4, v1, vcc_lo dst_sel:DWORD dst_unused:UNUSED_PAD src0_sel:DWORD src1_sel:WORD_1
	global_store_short v[2:3], v1, off
.LBB17_363:
	s_mov_b32 s20, 0
.LBB17_364:
	s_and_b32 vcc_lo, exec_lo, s20
	s_cbranch_vccz .LBB17_367
; %bb.365:
	s_cmp_eq_u32 s18, 11
	s_mov_b32 s0, -1
	s_cbranch_scc0 .LBB17_367
; %bb.366:
	v_cmp_neq_f32_e32 vcc_lo, 0, v0
	s_mov_b32 s0, 0
	s_mov_b32 s19, -1
	v_cndmask_b32_e64 v1, 0, 1, vcc_lo
	global_store_byte v[2:3], v1, off
.LBB17_367:
	s_mov_b32 s18, 0
.LBB17_368:
	s_and_b32 vcc_lo, exec_lo, s18
	s_cbranch_vccz .LBB17_407
; %bb.369:
	s_and_b32 s16, 0xffff, s16
	s_mov_b32 s18, -1
	s_cmp_lt_i32 s16, 5
	s_cbranch_scc1 .LBB17_390
; %bb.370:
	s_cmp_lt_i32 s16, 8
	s_cbranch_scc1 .LBB17_380
; %bb.371:
	;; [unrolled: 3-line block ×3, first 2 shown]
	s_cmp_gt_i32 s16, 9
	s_cbranch_scc0 .LBB17_374
; %bb.373:
	v_cvt_f64_f32_e32 v[8:9], v0
	v_mov_b32_e32 v10, 0
	s_mov_b32 s18, 0
	v_mov_b32_e32 v11, v10
	global_store_dwordx4 v[2:3], v[8:11], off
.LBB17_374:
	s_andn2_b32 vcc_lo, exec_lo, s18
	s_cbranch_vccnz .LBB17_376
; %bb.375:
	v_mov_b32_e32 v1, 0
	global_store_dwordx2 v[2:3], v[0:1], off
.LBB17_376:
	s_mov_b32 s18, 0
.LBB17_377:
	s_andn2_b32 vcc_lo, exec_lo, s18
	s_cbranch_vccnz .LBB17_379
; %bb.378:
	v_cvt_f16_f32_e32 v1, v0
	v_and_b32_e32 v1, 0xffff, v1
	global_store_dword v[2:3], v1, off
.LBB17_379:
	s_mov_b32 s18, 0
.LBB17_380:
	s_andn2_b32 vcc_lo, exec_lo, s18
	s_cbranch_vccnz .LBB17_389
; %bb.381:
	s_cmp_lt_i32 s16, 6
	s_mov_b32 s18, -1
	s_cbranch_scc1 .LBB17_387
; %bb.382:
	s_cmp_gt_i32 s16, 6
	s_cbranch_scc0 .LBB17_384
; %bb.383:
	v_cvt_f64_f32_e32 v[4:5], v0
	s_mov_b32 s18, 0
	global_store_dwordx2 v[2:3], v[4:5], off
.LBB17_384:
	s_andn2_b32 vcc_lo, exec_lo, s18
	s_cbranch_vccnz .LBB17_386
; %bb.385:
	global_store_dword v[2:3], v0, off
.LBB17_386:
	s_mov_b32 s18, 0
.LBB17_387:
	s_andn2_b32 vcc_lo, exec_lo, s18
	s_cbranch_vccnz .LBB17_389
; %bb.388:
	v_cvt_f16_f32_e32 v1, v0
	global_store_short v[2:3], v1, off
.LBB17_389:
	s_mov_b32 s18, 0
.LBB17_390:
	s_andn2_b32 vcc_lo, exec_lo, s18
	s_cbranch_vccnz .LBB17_406
; %bb.391:
	s_cmp_lt_i32 s16, 2
	s_mov_b32 s18, -1
	s_cbranch_scc1 .LBB17_401
; %bb.392:
	s_cmp_lt_i32 s16, 3
	s_cbranch_scc1 .LBB17_398
; %bb.393:
	s_cmp_gt_i32 s16, 3
	s_cbranch_scc0 .LBB17_395
; %bb.394:
	v_trunc_f32_e32 v1, v0
	s_mov_b32 s18, 0
	v_mul_f32_e64 v4, 0x2f800000, |v1|
	v_floor_f32_e32 v4, v4
	v_fma_f32 v5, 0xcf800000, v4, |v1|
	v_ashrrev_i32_e32 v1, 31, v1
	v_cvt_u32_f32_e32 v4, v4
	v_cvt_u32_f32_e32 v5, v5
	v_xor_b32_e32 v6, v4, v1
	v_xor_b32_e32 v5, v5, v1
	v_sub_co_u32 v4, vcc_lo, v5, v1
	v_sub_co_ci_u32_e64 v5, null, v6, v1, vcc_lo
	global_store_dwordx2 v[2:3], v[4:5], off
.LBB17_395:
	s_andn2_b32 vcc_lo, exec_lo, s18
	s_cbranch_vccnz .LBB17_397
; %bb.396:
	v_cvt_i32_f32_e32 v1, v0
	global_store_dword v[2:3], v1, off
.LBB17_397:
	s_mov_b32 s18, 0
.LBB17_398:
	s_andn2_b32 vcc_lo, exec_lo, s18
	s_cbranch_vccnz .LBB17_400
; %bb.399:
	v_cvt_i32_f32_e32 v1, v0
	global_store_short v[2:3], v1, off
.LBB17_400:
	s_mov_b32 s18, 0
.LBB17_401:
	s_andn2_b32 vcc_lo, exec_lo, s18
	s_cbranch_vccnz .LBB17_406
; %bb.402:
	s_cmp_gt_i32 s16, 0
	s_mov_b32 s16, -1
	s_cbranch_scc0 .LBB17_404
; %bb.403:
	v_cvt_i32_f32_e32 v1, v0
	s_mov_b32 s16, 0
	global_store_byte v[2:3], v1, off
.LBB17_404:
	s_andn2_b32 vcc_lo, exec_lo, s16
	s_cbranch_vccnz .LBB17_406
; %bb.405:
	v_trunc_f32_e32 v0, v0
	v_mul_f32_e64 v1, 0x2f800000, |v0|
	v_floor_f32_e32 v1, v1
	v_fma_f32 v1, 0xcf800000, v1, |v0|
	v_ashrrev_i32_e32 v0, 31, v0
	v_cvt_u32_f32_e32 v1, v1
	v_xor_b32_e32 v1, v1, v0
	v_sub_nc_u32_e32 v0, v1, v0
	global_store_byte v[2:3], v0, off
.LBB17_406:
	s_mov_b32 s19, -1
.LBB17_407:
	s_andn2_b32 vcc_lo, exec_lo, s19
	s_cbranch_vccnz .LBB17_409
; %bb.408:
	v_add_nc_u32_e32 v7, 0x80, v7
	s_mov_b32 s18, -1
	s_branch .LBB17_522
.LBB17_409:
	s_mov_b32 s18, 0
	s_branch .LBB17_521
.LBB17_410:
	s_mov_b32 s15, -1
                                        ; implicit-def: $vgpr2
.LBB17_411:
	s_mov_b32 s18, 0
.LBB17_412:
	s_and_b32 vcc_lo, exec_lo, s18
	s_cbranch_vccz .LBB17_416
; %bb.413:
	s_cmp_eq_u32 s0, 29
	s_cbranch_scc0 .LBB17_415
; %bb.414:
	global_load_dwordx2 v[2:3], v[0:1], off
	s_mov_b32 s16, -1
	s_mov_b32 s15, 0
	s_mov_b32 s18, 0
	s_waitcnt vmcnt(0)
	v_ffbh_u32_e32 v4, v3
	v_min_u32_e32 v4, 32, v4
	v_lshlrev_b64 v[2:3], v4, v[2:3]
	v_min_u32_e32 v2, 1, v2
	v_or_b32_e32 v2, v3, v2
	v_sub_nc_u32_e32 v3, 32, v4
	v_cvt_f32_u32_e32 v2, v2
	v_ldexp_f32 v2, v2, v3
	s_branch .LBB17_417
.LBB17_415:
	s_mov_b32 s15, -1
                                        ; implicit-def: $vgpr2
.LBB17_416:
	s_mov_b32 s18, 0
.LBB17_417:
	s_and_b32 vcc_lo, exec_lo, s18
	s_cbranch_vccz .LBB17_435
; %bb.418:
	s_cmp_lt_i32 s0, 27
	s_cbranch_scc1 .LBB17_421
; %bb.419:
	s_cmp_gt_i32 s0, 27
	s_cbranch_scc0 .LBB17_422
; %bb.420:
	global_load_dword v2, v[0:1], off
	s_mov_b32 s16, 0
	s_waitcnt vmcnt(0)
	v_cvt_f32_u32_e32 v2, v2
	s_branch .LBB17_423
.LBB17_421:
	s_mov_b32 s16, -1
                                        ; implicit-def: $vgpr2
	s_branch .LBB17_426
.LBB17_422:
	s_mov_b32 s16, -1
                                        ; implicit-def: $vgpr2
.LBB17_423:
	s_andn2_b32 vcc_lo, exec_lo, s16
	s_cbranch_vccnz .LBB17_425
; %bb.424:
	global_load_ushort v2, v[0:1], off
	s_waitcnt vmcnt(0)
	v_cvt_f32_u32_e32 v2, v2
.LBB17_425:
	s_mov_b32 s16, 0
.LBB17_426:
	s_andn2_b32 vcc_lo, exec_lo, s16
	s_cbranch_vccnz .LBB17_434
; %bb.427:
	global_load_ubyte v3, v[0:1], off
	s_mov_b32 s16, 0
	s_mov_b32 s18, exec_lo
	s_waitcnt vmcnt(0)
	v_cmpx_lt_i16_e32 0x7f, v3
	s_xor_b32 s18, exec_lo, s18
	s_cbranch_execz .LBB17_448
; %bb.428:
	s_mov_b32 s16, -1
	s_mov_b32 s19, exec_lo
	v_cmpx_eq_u16_e32 0x80, v3
; %bb.429:
	s_xor_b32 s16, exec_lo, -1
; %bb.430:
	s_or_b32 exec_lo, exec_lo, s19
	s_and_b32 s16, s16, exec_lo
	s_or_saveexec_b32 s18, s18
	v_mov_b32_e32 v2, 0x7f800001
	s_xor_b32 exec_lo, exec_lo, s18
	s_cbranch_execnz .LBB17_449
.LBB17_431:
	s_or_b32 exec_lo, exec_lo, s18
	s_and_saveexec_b32 s18, s16
	s_cbranch_execz .LBB17_433
.LBB17_432:
	v_and_b32_e32 v2, 0xffff, v3
	v_lshlrev_b32_e32 v3, 24, v3
	v_and_b32_e32 v4, 7, v2
	v_bfe_u32 v8, v2, 3, 4
	v_and_b32_e32 v3, 0x80000000, v3
	v_ffbh_u32_e32 v5, v4
	v_cmp_eq_u32_e32 vcc_lo, 0, v8
	v_min_u32_e32 v5, 32, v5
	v_subrev_nc_u32_e32 v6, 28, v5
	v_sub_nc_u32_e32 v5, 29, v5
	v_lshlrev_b32_e32 v2, v6, v2
	v_cndmask_b32_e32 v5, v8, v5, vcc_lo
	v_and_b32_e32 v2, 7, v2
	v_cndmask_b32_e32 v2, v4, v2, vcc_lo
	v_lshl_add_u32 v4, v5, 23, 0x3b800000
	v_lshlrev_b32_e32 v2, 20, v2
	v_or3_b32 v2, v3, v4, v2
.LBB17_433:
	s_or_b32 exec_lo, exec_lo, s18
.LBB17_434:
	s_mov_b32 s16, -1
.LBB17_435:
	s_mov_b32 s18, 0
.LBB17_436:
	s_and_b32 vcc_lo, exec_lo, s18
	s_cbranch_vccz .LBB17_471
; %bb.437:
	s_cmp_gt_i32 s0, 22
	s_cbranch_scc0 .LBB17_447
; %bb.438:
	s_cmp_lt_i32 s0, 24
	s_cbranch_scc1 .LBB17_450
; %bb.439:
	s_cmp_gt_i32 s0, 24
	s_cbranch_scc0 .LBB17_451
; %bb.440:
	global_load_ubyte v3, v[0:1], off
	s_mov_b32 s16, 0
	s_mov_b32 s18, exec_lo
	s_waitcnt vmcnt(0)
	v_cmpx_lt_i16_e32 0x7f, v3
	s_xor_b32 s18, exec_lo, s18
	s_cbranch_execz .LBB17_463
; %bb.441:
	s_mov_b32 s16, -1
	s_mov_b32 s19, exec_lo
	v_cmpx_eq_u16_e32 0x80, v3
; %bb.442:
	s_xor_b32 s16, exec_lo, -1
; %bb.443:
	s_or_b32 exec_lo, exec_lo, s19
	s_and_b32 s16, s16, exec_lo
	s_or_saveexec_b32 s18, s18
	v_mov_b32_e32 v2, 0x7f800001
	s_xor_b32 exec_lo, exec_lo, s18
	s_cbranch_execnz .LBB17_464
.LBB17_444:
	s_or_b32 exec_lo, exec_lo, s18
	s_and_saveexec_b32 s18, s16
	s_cbranch_execz .LBB17_446
.LBB17_445:
	v_and_b32_e32 v2, 0xffff, v3
	v_lshlrev_b32_e32 v3, 24, v3
	v_and_b32_e32 v4, 3, v2
	v_bfe_u32 v8, v2, 2, 5
	v_and_b32_e32 v3, 0x80000000, v3
	v_ffbh_u32_e32 v5, v4
	v_cmp_eq_u32_e32 vcc_lo, 0, v8
	v_min_u32_e32 v5, 32, v5
	v_subrev_nc_u32_e32 v6, 29, v5
	v_sub_nc_u32_e32 v5, 30, v5
	v_lshlrev_b32_e32 v2, v6, v2
	v_cndmask_b32_e32 v5, v8, v5, vcc_lo
	v_and_b32_e32 v2, 3, v2
	v_cndmask_b32_e32 v2, v4, v2, vcc_lo
	v_lshl_add_u32 v4, v5, 23, 0x37800000
	v_lshlrev_b32_e32 v2, 21, v2
	v_or3_b32 v2, v3, v4, v2
.LBB17_446:
	s_or_b32 exec_lo, exec_lo, s18
	s_mov_b32 s16, 0
	s_branch .LBB17_452
.LBB17_447:
	s_mov_b32 s18, -1
                                        ; implicit-def: $vgpr2
	s_branch .LBB17_458
.LBB17_448:
	s_or_saveexec_b32 s18, s18
	v_mov_b32_e32 v2, 0x7f800001
	s_xor_b32 exec_lo, exec_lo, s18
	s_cbranch_execz .LBB17_431
.LBB17_449:
	v_cmp_ne_u16_e32 vcc_lo, 0, v3
	v_mov_b32_e32 v2, 0
	s_andn2_b32 s16, s16, exec_lo
	s_and_b32 s19, vcc_lo, exec_lo
	s_or_b32 s16, s16, s19
	s_or_b32 exec_lo, exec_lo, s18
	s_and_saveexec_b32 s18, s16
	s_cbranch_execnz .LBB17_432
	s_branch .LBB17_433
.LBB17_450:
	s_mov_b32 s16, -1
                                        ; implicit-def: $vgpr2
	s_branch .LBB17_455
.LBB17_451:
	s_mov_b32 s16, -1
                                        ; implicit-def: $vgpr2
.LBB17_452:
	s_and_b32 vcc_lo, exec_lo, s16
	s_cbranch_vccz .LBB17_454
; %bb.453:
	global_load_ubyte v2, v[0:1], off
	s_waitcnt vmcnt(0)
	v_lshlrev_b32_e32 v2, 24, v2
	v_and_b32_e32 v3, 0x7f000000, v2
	v_ffbh_u32_e32 v4, v3
	v_add_nc_u32_e32 v6, 0x1000000, v3
	v_cmp_ne_u32_e32 vcc_lo, 0, v3
	v_min_u32_e32 v4, 32, v4
	v_sub_nc_u32_e64 v4, v4, 4 clamp
	v_lshlrev_b32_e32 v5, v4, v3
	v_lshlrev_b32_e32 v4, 23, v4
	v_lshrrev_b32_e32 v5, 4, v5
	v_sub_nc_u32_e32 v4, v5, v4
	v_ashrrev_i32_e32 v5, 8, v6
	v_add_nc_u32_e32 v4, 0x3c000000, v4
	v_and_or_b32 v4, 0x7f800000, v5, v4
	v_cndmask_b32_e32 v3, 0, v4, vcc_lo
	v_and_or_b32 v2, 0x80000000, v2, v3
.LBB17_454:
	s_mov_b32 s16, 0
.LBB17_455:
	s_andn2_b32 vcc_lo, exec_lo, s16
	s_cbranch_vccnz .LBB17_457
; %bb.456:
	global_load_ubyte v2, v[0:1], off
	s_waitcnt vmcnt(0)
	v_lshlrev_b32_e32 v3, 25, v2
	v_lshlrev_b16 v2, 8, v2
	v_lshrrev_b32_e32 v4, 4, v3
	v_and_or_b32 v5, 0x7f00, v2, 0.5
	v_cmp_gt_u32_e32 vcc_lo, 0x8000000, v3
	v_bfe_i32 v2, v2, 0, 16
	v_or_b32_e32 v4, 0x70000000, v4
	v_add_f32_e32 v5, -0.5, v5
	v_mul_f32_e32 v4, 0x7800000, v4
	v_cndmask_b32_e32 v3, v4, v5, vcc_lo
	v_and_or_b32 v2, 0x80000000, v2, v3
.LBB17_457:
	s_mov_b32 s18, 0
	s_mov_b32 s16, -1
.LBB17_458:
	s_andn2_b32 vcc_lo, exec_lo, s18
	s_cbranch_vccnz .LBB17_471
; %bb.459:
	s_cmp_gt_i32 s0, 14
	s_cbranch_scc0 .LBB17_462
; %bb.460:
	s_cmp_eq_u32 s0, 15
	s_cbranch_scc0 .LBB17_465
; %bb.461:
	global_load_ushort v2, v[0:1], off
	s_mov_b32 s16, -1
	s_mov_b32 s15, 0
	s_waitcnt vmcnt(0)
	v_lshlrev_b32_e32 v2, 16, v2
	s_branch .LBB17_466
.LBB17_462:
	s_mov_b32 s18, -1
                                        ; implicit-def: $vgpr2
	s_branch .LBB17_467
.LBB17_463:
	s_or_saveexec_b32 s18, s18
	v_mov_b32_e32 v2, 0x7f800001
	s_xor_b32 exec_lo, exec_lo, s18
	s_cbranch_execz .LBB17_444
.LBB17_464:
	v_cmp_ne_u16_e32 vcc_lo, 0, v3
	v_mov_b32_e32 v2, 0
	s_andn2_b32 s16, s16, exec_lo
	s_and_b32 s19, vcc_lo, exec_lo
	s_or_b32 s16, s16, s19
	s_or_b32 exec_lo, exec_lo, s18
	s_and_saveexec_b32 s18, s16
	s_cbranch_execnz .LBB17_445
	s_branch .LBB17_446
.LBB17_465:
	s_mov_b32 s15, -1
                                        ; implicit-def: $vgpr2
.LBB17_466:
	s_mov_b32 s18, 0
.LBB17_467:
	s_and_b32 vcc_lo, exec_lo, s18
	s_cbranch_vccz .LBB17_471
; %bb.468:
	s_cmp_eq_u32 s0, 11
	s_cbranch_scc0 .LBB17_470
; %bb.469:
	global_load_ubyte v2, v[0:1], off
	s_mov_b32 s15, 0
	s_mov_b32 s16, -1
	s_waitcnt vmcnt(0)
	v_cmp_ne_u16_e32 vcc_lo, 0, v2
	v_cndmask_b32_e64 v2, 0, 1.0, vcc_lo
	s_branch .LBB17_471
.LBB17_470:
	s_mov_b32 s15, -1
                                        ; implicit-def: $vgpr2
.LBB17_471:
	s_branch .LBB17_269
.LBB17_472:
	s_cmp_lt_i32 s0, 5
	s_cbranch_scc1 .LBB17_477
; %bb.473:
	s_cmp_lt_i32 s0, 8
	s_cbranch_scc1 .LBB17_478
; %bb.474:
	s_cmp_lt_i32 s0, 9
	s_cbranch_scc1 .LBB17_479
; %bb.475:
	s_cmp_gt_i32 s0, 9
	s_cbranch_scc0 .LBB17_480
; %bb.476:
	global_load_dwordx2 v[2:3], v[0:1], off
	s_mov_b32 s16, 0
	s_waitcnt vmcnt(0)
	v_cvt_f32_f64_e32 v2, v[2:3]
	s_branch .LBB17_481
.LBB17_477:
	s_mov_b32 s16, -1
                                        ; implicit-def: $vgpr2
	s_branch .LBB17_499
.LBB17_478:
	s_mov_b32 s16, -1
                                        ; implicit-def: $vgpr2
	s_branch .LBB17_487
.LBB17_479:
	s_mov_b32 s16, -1
                                        ; implicit-def: $vgpr2
	s_branch .LBB17_484
.LBB17_480:
	s_mov_b32 s16, -1
                                        ; implicit-def: $vgpr2
.LBB17_481:
	s_andn2_b32 vcc_lo, exec_lo, s16
	s_cbranch_vccnz .LBB17_483
; %bb.482:
	global_load_dword v2, v[0:1], off
.LBB17_483:
	s_mov_b32 s16, 0
.LBB17_484:
	s_andn2_b32 vcc_lo, exec_lo, s16
	s_cbranch_vccnz .LBB17_486
; %bb.485:
	global_load_dword v2, v[0:1], off
	s_waitcnt vmcnt(0)
	v_cvt_f32_f16_e32 v2, v2
.LBB17_486:
	s_mov_b32 s16, 0
.LBB17_487:
	s_andn2_b32 vcc_lo, exec_lo, s16
	s_cbranch_vccnz .LBB17_498
; %bb.488:
	s_cmp_lt_i32 s0, 6
	s_cbranch_scc1 .LBB17_491
; %bb.489:
	s_cmp_gt_i32 s0, 6
	s_cbranch_scc0 .LBB17_492
; %bb.490:
	global_load_dwordx2 v[2:3], v[0:1], off
	s_mov_b32 s16, 0
	s_waitcnt vmcnt(0)
	v_cvt_f32_f64_e32 v2, v[2:3]
	s_branch .LBB17_493
.LBB17_491:
	s_mov_b32 s16, -1
                                        ; implicit-def: $vgpr2
	s_branch .LBB17_496
.LBB17_492:
	s_mov_b32 s16, -1
                                        ; implicit-def: $vgpr2
.LBB17_493:
	s_andn2_b32 vcc_lo, exec_lo, s16
	s_cbranch_vccnz .LBB17_495
; %bb.494:
	global_load_dword v2, v[0:1], off
.LBB17_495:
	s_mov_b32 s16, 0
.LBB17_496:
	s_andn2_b32 vcc_lo, exec_lo, s16
	s_cbranch_vccnz .LBB17_498
; %bb.497:
	global_load_ushort v2, v[0:1], off
	s_waitcnt vmcnt(0)
	v_cvt_f32_f16_e32 v2, v2
.LBB17_498:
	s_mov_b32 s16, 0
.LBB17_499:
	s_andn2_b32 vcc_lo, exec_lo, s16
	s_cbranch_vccnz .LBB17_519
; %bb.500:
	s_cmp_lt_i32 s0, 2
	s_cbranch_scc1 .LBB17_504
; %bb.501:
	s_cmp_lt_i32 s0, 3
	s_cbranch_scc1 .LBB17_505
; %bb.502:
	s_cmp_gt_i32 s0, 3
	s_cbranch_scc0 .LBB17_506
; %bb.503:
	global_load_dwordx2 v[2:3], v[0:1], off
	s_mov_b32 s16, 0
	s_waitcnt vmcnt(0)
	v_xor_b32_e32 v4, v2, v3
	v_ffbh_i32_e32 v5, v3
	v_ashrrev_i32_e32 v4, 31, v4
	v_add_nc_u32_e32 v5, -1, v5
	v_add_nc_u32_e32 v4, 32, v4
	v_min_u32_e32 v4, v5, v4
	v_lshlrev_b64 v[2:3], v4, v[2:3]
	v_min_u32_e32 v2, 1, v2
	v_or_b32_e32 v2, v3, v2
	v_sub_nc_u32_e32 v3, 32, v4
	v_cvt_f32_i32_e32 v2, v2
	v_ldexp_f32 v2, v2, v3
	s_branch .LBB17_507
.LBB17_504:
	s_mov_b32 s16, -1
                                        ; implicit-def: $vgpr2
	s_branch .LBB17_513
.LBB17_505:
	s_mov_b32 s16, -1
                                        ; implicit-def: $vgpr2
	s_branch .LBB17_510
.LBB17_506:
	s_mov_b32 s16, -1
                                        ; implicit-def: $vgpr2
.LBB17_507:
	s_andn2_b32 vcc_lo, exec_lo, s16
	s_cbranch_vccnz .LBB17_509
; %bb.508:
	global_load_dword v2, v[0:1], off
	s_waitcnt vmcnt(0)
	v_cvt_f32_i32_e32 v2, v2
.LBB17_509:
	s_mov_b32 s16, 0
.LBB17_510:
	s_andn2_b32 vcc_lo, exec_lo, s16
	s_cbranch_vccnz .LBB17_512
; %bb.511:
	global_load_sshort v2, v[0:1], off
	s_waitcnt vmcnt(0)
	v_cvt_f32_i32_e32 v2, v2
.LBB17_512:
	s_mov_b32 s16, 0
.LBB17_513:
	s_andn2_b32 vcc_lo, exec_lo, s16
	s_cbranch_vccnz .LBB17_519
; %bb.514:
	s_cmp_gt_i32 s0, 0
	s_mov_b32 s0, 0
	s_cbranch_scc0 .LBB17_516
; %bb.515:
	global_load_sbyte v2, v[0:1], off
	s_waitcnt vmcnt(0)
	v_cvt_f32_i32_e32 v2, v2
	s_branch .LBB17_517
.LBB17_516:
	s_mov_b32 s0, -1
                                        ; implicit-def: $vgpr2
.LBB17_517:
	s_andn2_b32 vcc_lo, exec_lo, s0
	s_cbranch_vccnz .LBB17_519
; %bb.518:
	global_load_ubyte v0, v[0:1], off
	s_waitcnt vmcnt(0)
	v_cvt_f32_ubyte0_e32 v2, v0
.LBB17_519:
	s_branch .LBB17_270
.LBB17_520:
	s_mov_b32 s18, 0
	s_mov_b32 s0, s7
.LBB17_521:
                                        ; implicit-def: $vgpr7
.LBB17_522:
	s_andn2_b32 s16, s7, exec_lo
	s_and_b32 s0, s0, exec_lo
	s_andn2_b32 s19, s13, exec_lo
	s_and_b32 s15, s15, exec_lo
	s_or_b32 s16, s16, s0
	s_or_b32 s15, s19, s15
	s_orn2_b32 s0, s18, exec_lo
.LBB17_523:
	s_or_b32 exec_lo, exec_lo, s17
	s_mov_b32 s18, 0
	s_mov_b32 s19, 0
	;; [unrolled: 1-line block ×3, first 2 shown]
                                        ; implicit-def: $vgpr0_vgpr1
                                        ; implicit-def: $vgpr4
	s_and_saveexec_b32 s17, s0
	s_cbranch_execz .LBB17_874
; %bb.524:
	s_mov_b32 s20, -1
	s_mov_b32 s0, s15
	s_mov_b32 s19, s16
	s_mov_b32 s18, exec_lo
	v_cmpx_gt_i32_e64 s12, v7
	s_cbranch_execz .LBB17_788
; %bb.525:
	v_mul_lo_u32 v0, v7, s3
	s_and_b32 s0, 0xffff, s5
	s_cmp_lt_i32 s0, 11
	v_ashrrev_i32_e32 v1, 31, v0
	v_add_co_u32 v0, vcc_lo, s10, v0
	v_add_co_ci_u32_e64 v1, null, s11, v1, vcc_lo
	s_cbranch_scc1 .LBB17_532
; %bb.526:
	s_cmp_gt_i32 s0, 25
	s_cbranch_scc0 .LBB17_533
; %bb.527:
	s_cmp_gt_i32 s0, 28
	s_cbranch_scc0 .LBB17_534
	;; [unrolled: 3-line block ×4, first 2 shown]
; %bb.530:
	s_cmp_eq_u32 s0, 46
	s_mov_b32 s21, 0
	s_cbranch_scc0 .LBB17_541
; %bb.531:
	global_load_dword v2, v[0:1], off
	s_mov_b32 s19, 0
	s_waitcnt vmcnt(0)
	v_lshlrev_b32_e32 v2, 16, v2
	s_branch .LBB17_543
.LBB17_532:
	s_mov_b32 s21, -1
	s_mov_b32 s20, 0
	s_mov_b32 s19, s15
                                        ; implicit-def: $vgpr2
	s_branch .LBB17_608
.LBB17_533:
	s_mov_b32 s21, -1
	s_mov_b32 s20, 0
	s_mov_b32 s19, s15
                                        ; implicit-def: $vgpr2
	s_branch .LBB17_572
.LBB17_534:
	s_mov_b32 s21, -1
	s_mov_b32 s20, 0
	s_mov_b32 s19, s15
                                        ; implicit-def: $vgpr2
	s_branch .LBB17_553
.LBB17_535:
	s_mov_b32 s21, -1
	s_mov_b32 s20, 0
	s_mov_b32 s19, s15
                                        ; implicit-def: $vgpr2
	s_branch .LBB17_548
.LBB17_536:
	s_andn2_saveexec_b32 s21, s21
	s_cbranch_execz .LBB17_320
.LBB17_537:
	v_add_f32_e64 v1, 0x46000000, |v0|
	s_andn2_b32 s20, s20, exec_lo
	v_and_b32_e32 v1, 0xff, v1
	v_cmp_ne_u32_e32 vcc_lo, 0, v1
	s_and_b32 s22, vcc_lo, exec_lo
	s_or_b32 s20, s20, s22
	s_or_b32 exec_lo, exec_lo, s21
	v_mov_b32_e32 v4, 0
	s_and_saveexec_b32 s21, s20
	s_cbranch_execnz .LBB17_321
	s_branch .LBB17_322
.LBB17_538:
	s_mov_b32 s21, -1
	s_mov_b32 s20, 0
	s_mov_b32 s19, s15
	s_branch .LBB17_542
.LBB17_539:
	s_andn2_saveexec_b32 s21, s21
	s_cbranch_execz .LBB17_333
.LBB17_540:
	v_add_f32_e64 v1, 0x42800000, |v0|
	s_andn2_b32 s20, s20, exec_lo
	v_and_b32_e32 v1, 0xff, v1
	v_cmp_ne_u32_e32 vcc_lo, 0, v1
	s_and_b32 s22, vcc_lo, exec_lo
	s_or_b32 s20, s20, s22
	s_or_b32 exec_lo, exec_lo, s21
	v_mov_b32_e32 v4, 0
	s_and_saveexec_b32 s21, s20
	s_cbranch_execnz .LBB17_334
	s_branch .LBB17_335
.LBB17_541:
	s_mov_b32 s19, -1
	s_mov_b32 s20, 0
.LBB17_542:
                                        ; implicit-def: $vgpr2
.LBB17_543:
	s_and_b32 vcc_lo, exec_lo, s21
	s_cbranch_vccz .LBB17_547
; %bb.544:
	s_cmp_eq_u32 s0, 44
	s_cbranch_scc0 .LBB17_546
; %bb.545:
	global_load_ubyte v2, v[0:1], off
	s_mov_b32 s19, 0
	s_mov_b32 s20, -1
	s_waitcnt vmcnt(0)
	v_lshlrev_b32_e32 v3, 23, v2
	v_cmp_ne_u32_e32 vcc_lo, 0xff, v2
	v_cndmask_b32_e32 v3, 0x7f800001, v3, vcc_lo
	v_cmp_ne_u32_e32 vcc_lo, 0, v2
	v_cndmask_b32_e32 v2, 0x400000, v3, vcc_lo
	s_branch .LBB17_547
.LBB17_546:
	s_mov_b32 s19, -1
                                        ; implicit-def: $vgpr2
.LBB17_547:
	s_mov_b32 s21, 0
.LBB17_548:
	s_and_b32 vcc_lo, exec_lo, s21
	s_cbranch_vccz .LBB17_552
; %bb.549:
	s_cmp_eq_u32 s0, 29
	s_cbranch_scc0 .LBB17_551
; %bb.550:
	global_load_dwordx2 v[2:3], v[0:1], off
	s_mov_b32 s20, -1
	s_mov_b32 s19, 0
	s_mov_b32 s21, 0
	s_waitcnt vmcnt(0)
	v_ffbh_u32_e32 v4, v3
	v_min_u32_e32 v4, 32, v4
	v_lshlrev_b64 v[2:3], v4, v[2:3]
	v_min_u32_e32 v2, 1, v2
	v_or_b32_e32 v2, v3, v2
	v_sub_nc_u32_e32 v3, 32, v4
	v_cvt_f32_u32_e32 v2, v2
	v_ldexp_f32 v2, v2, v3
	s_branch .LBB17_553
.LBB17_551:
	s_mov_b32 s19, -1
                                        ; implicit-def: $vgpr2
.LBB17_552:
	s_mov_b32 s21, 0
.LBB17_553:
	s_and_b32 vcc_lo, exec_lo, s21
	s_cbranch_vccz .LBB17_571
; %bb.554:
	s_cmp_lt_i32 s0, 27
	s_cbranch_scc1 .LBB17_557
; %bb.555:
	s_cmp_gt_i32 s0, 27
	s_cbranch_scc0 .LBB17_558
; %bb.556:
	global_load_dword v2, v[0:1], off
	s_mov_b32 s20, 0
	s_waitcnt vmcnt(0)
	v_cvt_f32_u32_e32 v2, v2
	s_branch .LBB17_559
.LBB17_557:
	s_mov_b32 s20, -1
                                        ; implicit-def: $vgpr2
	s_branch .LBB17_562
.LBB17_558:
	s_mov_b32 s20, -1
                                        ; implicit-def: $vgpr2
.LBB17_559:
	s_andn2_b32 vcc_lo, exec_lo, s20
	s_cbranch_vccnz .LBB17_561
; %bb.560:
	global_load_ushort v2, v[0:1], off
	s_waitcnt vmcnt(0)
	v_cvt_f32_u32_e32 v2, v2
.LBB17_561:
	s_mov_b32 s20, 0
.LBB17_562:
	s_andn2_b32 vcc_lo, exec_lo, s20
	s_cbranch_vccnz .LBB17_570
; %bb.563:
	global_load_ubyte v3, v[0:1], off
	s_mov_b32 s20, 0
	s_mov_b32 s21, exec_lo
	s_waitcnt vmcnt(0)
	v_cmpx_lt_i16_e32 0x7f, v3
	s_xor_b32 s21, exec_lo, s21
	s_cbranch_execz .LBB17_584
; %bb.564:
	s_mov_b32 s20, -1
	s_mov_b32 s22, exec_lo
	v_cmpx_eq_u16_e32 0x80, v3
; %bb.565:
	s_xor_b32 s20, exec_lo, -1
; %bb.566:
	s_or_b32 exec_lo, exec_lo, s22
	s_and_b32 s20, s20, exec_lo
	s_or_saveexec_b32 s21, s21
	v_mov_b32_e32 v2, 0x7f800001
	s_xor_b32 exec_lo, exec_lo, s21
	s_cbranch_execnz .LBB17_585
.LBB17_567:
	s_or_b32 exec_lo, exec_lo, s21
	s_and_saveexec_b32 s21, s20
	s_cbranch_execz .LBB17_569
.LBB17_568:
	v_and_b32_e32 v2, 0xffff, v3
	v_lshlrev_b32_e32 v3, 24, v3
	v_and_b32_e32 v4, 7, v2
	v_bfe_u32 v8, v2, 3, 4
	v_and_b32_e32 v3, 0x80000000, v3
	v_ffbh_u32_e32 v5, v4
	v_cmp_eq_u32_e32 vcc_lo, 0, v8
	v_min_u32_e32 v5, 32, v5
	v_subrev_nc_u32_e32 v6, 28, v5
	v_sub_nc_u32_e32 v5, 29, v5
	v_lshlrev_b32_e32 v2, v6, v2
	v_cndmask_b32_e32 v5, v8, v5, vcc_lo
	v_and_b32_e32 v2, 7, v2
	v_cndmask_b32_e32 v2, v4, v2, vcc_lo
	v_lshl_add_u32 v4, v5, 23, 0x3b800000
	v_lshlrev_b32_e32 v2, 20, v2
	v_or3_b32 v2, v3, v4, v2
.LBB17_569:
	s_or_b32 exec_lo, exec_lo, s21
.LBB17_570:
	s_mov_b32 s20, -1
.LBB17_571:
	s_mov_b32 s21, 0
.LBB17_572:
	s_and_b32 vcc_lo, exec_lo, s21
	s_cbranch_vccz .LBB17_607
; %bb.573:
	s_cmp_gt_i32 s0, 22
	s_cbranch_scc0 .LBB17_583
; %bb.574:
	s_cmp_lt_i32 s0, 24
	s_cbranch_scc1 .LBB17_586
; %bb.575:
	s_cmp_gt_i32 s0, 24
	s_cbranch_scc0 .LBB17_587
; %bb.576:
	global_load_ubyte v3, v[0:1], off
	s_mov_b32 s20, 0
	s_mov_b32 s21, exec_lo
	s_waitcnt vmcnt(0)
	v_cmpx_lt_i16_e32 0x7f, v3
	s_xor_b32 s21, exec_lo, s21
	s_cbranch_execz .LBB17_599
; %bb.577:
	s_mov_b32 s20, -1
	s_mov_b32 s22, exec_lo
	v_cmpx_eq_u16_e32 0x80, v3
; %bb.578:
	s_xor_b32 s20, exec_lo, -1
; %bb.579:
	s_or_b32 exec_lo, exec_lo, s22
	s_and_b32 s20, s20, exec_lo
	s_or_saveexec_b32 s21, s21
	v_mov_b32_e32 v2, 0x7f800001
	s_xor_b32 exec_lo, exec_lo, s21
	s_cbranch_execnz .LBB17_600
.LBB17_580:
	s_or_b32 exec_lo, exec_lo, s21
	s_and_saveexec_b32 s21, s20
	s_cbranch_execz .LBB17_582
.LBB17_581:
	v_and_b32_e32 v2, 0xffff, v3
	v_lshlrev_b32_e32 v3, 24, v3
	v_and_b32_e32 v4, 3, v2
	v_bfe_u32 v8, v2, 2, 5
	v_and_b32_e32 v3, 0x80000000, v3
	v_ffbh_u32_e32 v5, v4
	v_cmp_eq_u32_e32 vcc_lo, 0, v8
	v_min_u32_e32 v5, 32, v5
	v_subrev_nc_u32_e32 v6, 29, v5
	v_sub_nc_u32_e32 v5, 30, v5
	v_lshlrev_b32_e32 v2, v6, v2
	v_cndmask_b32_e32 v5, v8, v5, vcc_lo
	v_and_b32_e32 v2, 3, v2
	v_cndmask_b32_e32 v2, v4, v2, vcc_lo
	v_lshl_add_u32 v4, v5, 23, 0x37800000
	v_lshlrev_b32_e32 v2, 21, v2
	v_or3_b32 v2, v3, v4, v2
.LBB17_582:
	s_or_b32 exec_lo, exec_lo, s21
	s_mov_b32 s20, 0
	s_branch .LBB17_588
.LBB17_583:
	s_mov_b32 s21, -1
                                        ; implicit-def: $vgpr2
	s_branch .LBB17_594
.LBB17_584:
	s_or_saveexec_b32 s21, s21
	v_mov_b32_e32 v2, 0x7f800001
	s_xor_b32 exec_lo, exec_lo, s21
	s_cbranch_execz .LBB17_567
.LBB17_585:
	v_cmp_ne_u16_e32 vcc_lo, 0, v3
	v_mov_b32_e32 v2, 0
	s_andn2_b32 s20, s20, exec_lo
	s_and_b32 s22, vcc_lo, exec_lo
	s_or_b32 s20, s20, s22
	s_or_b32 exec_lo, exec_lo, s21
	s_and_saveexec_b32 s21, s20
	s_cbranch_execnz .LBB17_568
	s_branch .LBB17_569
.LBB17_586:
	s_mov_b32 s20, -1
                                        ; implicit-def: $vgpr2
	s_branch .LBB17_591
.LBB17_587:
	s_mov_b32 s20, -1
                                        ; implicit-def: $vgpr2
.LBB17_588:
	s_and_b32 vcc_lo, exec_lo, s20
	s_cbranch_vccz .LBB17_590
; %bb.589:
	global_load_ubyte v2, v[0:1], off
	s_waitcnt vmcnt(0)
	v_lshlrev_b32_e32 v2, 24, v2
	v_and_b32_e32 v3, 0x7f000000, v2
	v_ffbh_u32_e32 v4, v3
	v_add_nc_u32_e32 v6, 0x1000000, v3
	v_cmp_ne_u32_e32 vcc_lo, 0, v3
	v_min_u32_e32 v4, 32, v4
	v_sub_nc_u32_e64 v4, v4, 4 clamp
	v_lshlrev_b32_e32 v5, v4, v3
	v_lshlrev_b32_e32 v4, 23, v4
	v_lshrrev_b32_e32 v5, 4, v5
	v_sub_nc_u32_e32 v4, v5, v4
	v_ashrrev_i32_e32 v5, 8, v6
	v_add_nc_u32_e32 v4, 0x3c000000, v4
	v_and_or_b32 v4, 0x7f800000, v5, v4
	v_cndmask_b32_e32 v3, 0, v4, vcc_lo
	v_and_or_b32 v2, 0x80000000, v2, v3
.LBB17_590:
	s_mov_b32 s20, 0
.LBB17_591:
	s_andn2_b32 vcc_lo, exec_lo, s20
	s_cbranch_vccnz .LBB17_593
; %bb.592:
	global_load_ubyte v2, v[0:1], off
	s_waitcnt vmcnt(0)
	v_lshlrev_b32_e32 v3, 25, v2
	v_lshlrev_b16 v2, 8, v2
	v_lshrrev_b32_e32 v4, 4, v3
	v_and_or_b32 v5, 0x7f00, v2, 0.5
	v_cmp_gt_u32_e32 vcc_lo, 0x8000000, v3
	v_bfe_i32 v2, v2, 0, 16
	v_or_b32_e32 v4, 0x70000000, v4
	v_add_f32_e32 v5, -0.5, v5
	v_mul_f32_e32 v4, 0x7800000, v4
	v_cndmask_b32_e32 v3, v4, v5, vcc_lo
	v_and_or_b32 v2, 0x80000000, v2, v3
.LBB17_593:
	s_mov_b32 s21, 0
	s_mov_b32 s20, -1
.LBB17_594:
	s_andn2_b32 vcc_lo, exec_lo, s21
	s_cbranch_vccnz .LBB17_607
; %bb.595:
	s_cmp_gt_i32 s0, 14
	s_cbranch_scc0 .LBB17_598
; %bb.596:
	s_cmp_eq_u32 s0, 15
	s_cbranch_scc0 .LBB17_601
; %bb.597:
	global_load_ushort v2, v[0:1], off
	s_mov_b32 s20, -1
	s_mov_b32 s19, 0
	s_waitcnt vmcnt(0)
	v_lshlrev_b32_e32 v2, 16, v2
	s_branch .LBB17_602
.LBB17_598:
	s_mov_b32 s21, -1
                                        ; implicit-def: $vgpr2
	s_branch .LBB17_603
.LBB17_599:
	s_or_saveexec_b32 s21, s21
	v_mov_b32_e32 v2, 0x7f800001
	s_xor_b32 exec_lo, exec_lo, s21
	s_cbranch_execz .LBB17_580
.LBB17_600:
	v_cmp_ne_u16_e32 vcc_lo, 0, v3
	v_mov_b32_e32 v2, 0
	s_andn2_b32 s20, s20, exec_lo
	s_and_b32 s22, vcc_lo, exec_lo
	s_or_b32 s20, s20, s22
	s_or_b32 exec_lo, exec_lo, s21
	s_and_saveexec_b32 s21, s20
	s_cbranch_execnz .LBB17_581
	s_branch .LBB17_582
.LBB17_601:
	s_mov_b32 s19, -1
                                        ; implicit-def: $vgpr2
.LBB17_602:
	s_mov_b32 s21, 0
.LBB17_603:
	s_and_b32 vcc_lo, exec_lo, s21
	s_cbranch_vccz .LBB17_607
; %bb.604:
	s_cmp_eq_u32 s0, 11
	s_cbranch_scc0 .LBB17_606
; %bb.605:
	global_load_ubyte v2, v[0:1], off
	s_mov_b32 s19, 0
	s_mov_b32 s20, -1
	s_waitcnt vmcnt(0)
	v_cmp_ne_u16_e32 vcc_lo, 0, v2
	v_cndmask_b32_e64 v2, 0, 1.0, vcc_lo
	s_branch .LBB17_607
.LBB17_606:
	s_mov_b32 s19, -1
                                        ; implicit-def: $vgpr2
.LBB17_607:
	s_mov_b32 s21, 0
.LBB17_608:
	s_and_b32 vcc_lo, exec_lo, s21
	s_cbranch_vccz .LBB17_657
; %bb.609:
	s_cmp_lt_i32 s0, 5
	s_cbranch_scc1 .LBB17_614
; %bb.610:
	s_cmp_lt_i32 s0, 8
	s_cbranch_scc1 .LBB17_615
	;; [unrolled: 3-line block ×3, first 2 shown]
; %bb.612:
	s_cmp_gt_i32 s0, 9
	s_cbranch_scc0 .LBB17_617
; %bb.613:
	global_load_dwordx2 v[2:3], v[0:1], off
	s_mov_b32 s20, 0
	s_waitcnt vmcnt(0)
	v_cvt_f32_f64_e32 v2, v[2:3]
	s_branch .LBB17_618
.LBB17_614:
	s_mov_b32 s20, -1
                                        ; implicit-def: $vgpr2
	s_branch .LBB17_636
.LBB17_615:
	s_mov_b32 s20, -1
                                        ; implicit-def: $vgpr2
	s_branch .LBB17_624
.LBB17_616:
	s_mov_b32 s20, -1
                                        ; implicit-def: $vgpr2
	s_branch .LBB17_621
.LBB17_617:
	s_mov_b32 s20, -1
                                        ; implicit-def: $vgpr2
.LBB17_618:
	s_andn2_b32 vcc_lo, exec_lo, s20
	s_cbranch_vccnz .LBB17_620
; %bb.619:
	global_load_dword v2, v[0:1], off
.LBB17_620:
	s_mov_b32 s20, 0
.LBB17_621:
	s_andn2_b32 vcc_lo, exec_lo, s20
	s_cbranch_vccnz .LBB17_623
; %bb.622:
	global_load_dword v2, v[0:1], off
	s_waitcnt vmcnt(0)
	v_cvt_f32_f16_e32 v2, v2
.LBB17_623:
	s_mov_b32 s20, 0
.LBB17_624:
	s_andn2_b32 vcc_lo, exec_lo, s20
	s_cbranch_vccnz .LBB17_635
; %bb.625:
	s_cmp_lt_i32 s0, 6
	s_cbranch_scc1 .LBB17_628
; %bb.626:
	s_cmp_gt_i32 s0, 6
	s_cbranch_scc0 .LBB17_629
; %bb.627:
	global_load_dwordx2 v[2:3], v[0:1], off
	s_mov_b32 s20, 0
	s_waitcnt vmcnt(0)
	v_cvt_f32_f64_e32 v2, v[2:3]
	s_branch .LBB17_630
.LBB17_628:
	s_mov_b32 s20, -1
                                        ; implicit-def: $vgpr2
	s_branch .LBB17_633
.LBB17_629:
	s_mov_b32 s20, -1
                                        ; implicit-def: $vgpr2
.LBB17_630:
	s_andn2_b32 vcc_lo, exec_lo, s20
	s_cbranch_vccnz .LBB17_632
; %bb.631:
	global_load_dword v2, v[0:1], off
.LBB17_632:
	s_mov_b32 s20, 0
.LBB17_633:
	s_andn2_b32 vcc_lo, exec_lo, s20
	s_cbranch_vccnz .LBB17_635
; %bb.634:
	global_load_ushort v2, v[0:1], off
	s_waitcnt vmcnt(0)
	v_cvt_f32_f16_e32 v2, v2
.LBB17_635:
	s_mov_b32 s20, 0
.LBB17_636:
	s_andn2_b32 vcc_lo, exec_lo, s20
	s_cbranch_vccnz .LBB17_656
; %bb.637:
	s_cmp_lt_i32 s0, 2
	s_cbranch_scc1 .LBB17_641
; %bb.638:
	s_cmp_lt_i32 s0, 3
	s_cbranch_scc1 .LBB17_642
; %bb.639:
	s_cmp_gt_i32 s0, 3
	s_cbranch_scc0 .LBB17_643
; %bb.640:
	global_load_dwordx2 v[2:3], v[0:1], off
	s_mov_b32 s20, 0
	s_waitcnt vmcnt(0)
	v_xor_b32_e32 v4, v2, v3
	v_ffbh_i32_e32 v5, v3
	v_ashrrev_i32_e32 v4, 31, v4
	v_add_nc_u32_e32 v5, -1, v5
	v_add_nc_u32_e32 v4, 32, v4
	v_min_u32_e32 v4, v5, v4
	v_lshlrev_b64 v[2:3], v4, v[2:3]
	v_min_u32_e32 v2, 1, v2
	v_or_b32_e32 v2, v3, v2
	v_sub_nc_u32_e32 v3, 32, v4
	v_cvt_f32_i32_e32 v2, v2
	v_ldexp_f32 v2, v2, v3
	s_branch .LBB17_644
.LBB17_641:
	s_mov_b32 s20, -1
                                        ; implicit-def: $vgpr2
	s_branch .LBB17_650
.LBB17_642:
	s_mov_b32 s20, -1
                                        ; implicit-def: $vgpr2
	s_branch .LBB17_647
.LBB17_643:
	s_mov_b32 s20, -1
                                        ; implicit-def: $vgpr2
.LBB17_644:
	s_andn2_b32 vcc_lo, exec_lo, s20
	s_cbranch_vccnz .LBB17_646
; %bb.645:
	global_load_dword v2, v[0:1], off
	s_waitcnt vmcnt(0)
	v_cvt_f32_i32_e32 v2, v2
.LBB17_646:
	s_mov_b32 s20, 0
.LBB17_647:
	s_andn2_b32 vcc_lo, exec_lo, s20
	s_cbranch_vccnz .LBB17_649
; %bb.648:
	global_load_sshort v2, v[0:1], off
	s_waitcnt vmcnt(0)
	v_cvt_f32_i32_e32 v2, v2
.LBB17_649:
	s_mov_b32 s20, 0
.LBB17_650:
	s_andn2_b32 vcc_lo, exec_lo, s20
	s_cbranch_vccnz .LBB17_656
; %bb.651:
	s_cmp_gt_i32 s0, 0
	s_mov_b32 s0, 0
	s_cbranch_scc0 .LBB17_653
; %bb.652:
	global_load_sbyte v2, v[0:1], off
	s_waitcnt vmcnt(0)
	v_cvt_f32_i32_e32 v2, v2
	s_branch .LBB17_654
.LBB17_653:
	s_mov_b32 s0, -1
                                        ; implicit-def: $vgpr2
.LBB17_654:
	s_andn2_b32 vcc_lo, exec_lo, s0
	s_cbranch_vccnz .LBB17_656
; %bb.655:
	global_load_ubyte v0, v[0:1], off
	s_waitcnt vmcnt(0)
	v_cvt_f32_ubyte0_e32 v2, v0
.LBB17_656:
	s_mov_b32 s20, -1
.LBB17_657:
	s_andn2_b32 vcc_lo, exec_lo, s20
	s_cbranch_vccnz .LBB17_669
; %bb.658:
	s_waitcnt vmcnt(0)
	v_cmp_ge_f32_e64 s0, 0x41000000, |v2|
	v_mul_f32_e64 v1, 0x3fb8aa3b, |v2|
                                        ; implicit-def: $vgpr0
	s_and_saveexec_b32 s20, s0
	s_xor_b32 s0, exec_lo, s20
	s_cbranch_execz .LBB17_660
; %bb.659:
	v_fma_f32 v0, |v2|, 0.5, -2.0
	s_mov_b32 s20, 0xa2a2e5b9
	v_rndne_f32_e32 v5, v1
	v_fma_f32 v6, 0x3fb8aa3b, |v2|, -v1
	v_cmp_ngt_f32_e64 vcc_lo, 0xc2ce8ed0, |v2|
	v_fmaak_f32 v3, s20, v0, 0x24199b15
	v_sub_f32_e32 v1, v1, v5
	v_fma_f32 v6, 0x32a5705f, |v2|, v6
	v_cvt_i32_f32_e32 v5, v5
	v_fmaak_f32 v4, v0, v3, 0x22a2e5b9
	v_add_f32_e32 v1, v1, v6
	v_add_f32_e32 v4, 0xa58c275c, v4
	v_exp_f32_e32 v1, v1
	v_fma_f32 v3, v0, v4, -v3
	v_add_f32_e32 v3, 0x26f736c5, v3
	v_ldexp_f32 v1, v1, v5
	v_fma_f32 v4, v0, v3, -v4
	v_cndmask_b32_e32 v1, 0, v1, vcc_lo
	v_cmp_nlt_f32_e64 vcc_lo, 0x42b17218, |v2|
	v_add_f32_e32 v4, 0xa8528116, v4
                                        ; implicit-def: $vgpr2
	v_cndmask_b32_e32 v1, 0x7f800000, v1, vcc_lo
	v_fma_f32 v3, v0, v4, -v3
	v_add_f32_e32 v3, 0x29acda32, v3
	v_fma_f32 v4, v0, v3, -v4
	v_add_f32_e32 v4, 0xab08b263, v4
	;; [unrolled: 2-line block ×25, first 2 shown]
	v_sub_f32_e32 v0, v0, v3
	v_mul_f32_e32 v0, 0.5, v0
	v_mul_f32_e32 v0, v1, v0
                                        ; implicit-def: $vgpr1
.LBB17_660:
	s_andn2_saveexec_b32 s20, s0
	s_cbranch_execz .LBB17_662
; %bb.661:
	v_and_b32_e32 v0, 0x7fffffff, v2
	s_mov_b32 s0, 0xa3056dbb
	v_fma_f32 v8, 0x3fb8aa3b, |v2|, -v1
	v_div_scale_f32 v3, null, v0, v0, 0x42000000
	v_div_scale_f32 v0, vcc_lo, 0x42000000, v0, 0x42000000
	v_fma_f32 v8, 0x32a5705f, |v2|, v8
	v_rcp_f32_e32 v4, v3
	v_fma_f32 v5, -v3, v4, 1.0
	v_fmac_f32_e32 v4, v5, v4
	v_mul_f32_e32 v5, v0, v4
	v_fma_f32 v6, -v3, v5, v0
	v_fmac_f32_e32 v5, v6, v4
	v_rndne_f32_e32 v6, v1
	v_fma_f32 v0, -v3, v5, v0
	v_sub_f32_e32 v1, v1, v6
	v_cvt_i32_f32_e32 v6, v6
	v_div_fmas_f32 v0, v0, v4, v5
	v_mul_f32_e64 v5, 0x4f800000, |v2|
	v_cmp_gt_f32_e64 vcc_lo, 0xf800000, |v2|
	v_add_f32_e32 v1, v1, v8
	v_div_fixup_f32 v0, v0, |v2|, 0x42000000
	v_cndmask_b32_e64 v5, |v2|, v5, vcc_lo
	v_exp_f32_e32 v1, v1
	v_add_f32_e32 v0, -2.0, v0
	v_sqrt_f32_e32 v9, v5
	v_fmaak_f32 v3, s0, v0, 0xa2b236d3
	v_ldexp_f32 v1, v1, v6
	v_fmaak_f32 v4, v0, v3, 0x23056dbb
	v_add_nc_u32_e32 v8, -1, v9
	v_add_nc_u32_e32 v10, 1, v9
	v_add_f32_e32 v4, 0x244df0c1, v4
	v_fma_f32 v11, -v8, v9, v5
	v_fma_f32 v12, -v10, v9, v5
	v_fma_f32 v3, v0, v4, -v3
	v_cmp_ge_f32_e64 s0, 0, v11
	v_add_f32_e32 v3, 0x241f9ee8, v3
	v_cndmask_b32_e64 v8, v9, v8, s0
	v_cmp_lt_f32_e64 s0, 0, v12
	v_fma_f32 v4, v0, v3, -v4
	v_add_f32_e32 v4, 0xa5a3005d, v4
	v_fma_f32 v3, v0, v4, -v3
	v_add_f32_e32 v3, 0xa5c5773f, v3
	;; [unrolled: 2-line block ×20, first 2 shown]
	v_fma_f32 v0, v0, v3, -v4
	v_cndmask_b32_e64 v3, v8, v10, s0
	v_cmp_ngt_f32_e64 s0, 0xc2ce8ed0, |v2|
	v_add_f32_e32 v0, 0x3f4df315, v0
	v_mul_f32_e32 v6, 0x37800000, v3
	v_cndmask_b32_e64 v1, 0, v1, s0
	v_cmp_nlt_f32_e64 s0, 0x42b17218, |v2|
	v_sub_f32_e32 v0, v0, v4
	v_cndmask_b32_e32 v2, v3, v6, vcc_lo
	v_cmp_class_f32_e64 vcc_lo, v5, 0x260
	v_cndmask_b32_e64 v1, 0x7f800000, v1, s0
	v_mul_f32_e32 v0, 0.5, v0
	v_cndmask_b32_e32 v2, v2, v5, vcc_lo
	v_mul_f32_e32 v0, v1, v0
	v_div_scale_f32 v1, null, v2, v2, v0
	v_rcp_f32_e32 v3, v1
	v_fma_f32 v4, -v1, v3, 1.0
	v_fmac_f32_e32 v3, v4, v3
	v_div_scale_f32 v4, vcc_lo, v0, v2, v0
	v_mul_f32_e32 v5, v4, v3
	v_fma_f32 v6, -v1, v5, v4
	v_fmac_f32_e32 v5, v6, v3
	v_fma_f32 v1, -v1, v5, v4
	v_div_fmas_f32 v1, v1, v3, v5
	v_div_fixup_f32 v0, v1, v2, v0
.LBB17_662:
	s_or_b32 exec_lo, exec_lo, s20
	v_mul_lo_u32 v1, v7, s2
	s_and_b32 s20, s1, 0xff
	s_cmp_lt_i32 s20, 11
	v_ashrrev_i32_e32 v3, 31, v1
	v_add_co_u32 v2, vcc_lo, s8, v1
	v_add_co_ci_u32_e64 v3, null, s9, v3, vcc_lo
	s_cbranch_scc1 .LBB17_670
; %bb.663:
	s_and_b32 s21, 0xffff, s20
	s_cmp_gt_i32 s21, 25
	s_cbranch_scc0 .LBB17_671
; %bb.664:
	s_cmp_gt_i32 s21, 28
	s_cbranch_scc0 .LBB17_672
; %bb.665:
	;; [unrolled: 3-line block ×4, first 2 shown]
	s_mov_b32 s23, 0
	s_mov_b32 s0, -1
	s_cmp_eq_u32 s21, 46
	s_mov_b32 s22, 0
	s_cbranch_scc0 .LBB17_675
; %bb.668:
	v_bfe_u32 v1, v0, 16, 1
	v_cmp_o_f32_e32 vcc_lo, v0, v0
	v_mov_b32_e32 v4, 0x7fc0
	s_mov_b32 s22, -1
	s_mov_b32 s0, 0
	v_add3_u32 v1, v0, v1, 0x7fff
	v_cndmask_b32_sdwa v1, v4, v1, vcc_lo dst_sel:DWORD dst_unused:UNUSED_PAD src0_sel:DWORD src1_sel:WORD_1
	global_store_dword v[2:3], v1, off
	s_branch .LBB17_675
.LBB17_669:
	s_mov_b32 s20, 0
	s_mov_b32 s0, s16
	s_branch .LBB17_786
.LBB17_670:
	s_mov_b32 s21, -1
	s_mov_b32 s22, 0
	s_mov_b32 s0, s16
	s_branch .LBB17_744
.LBB17_671:
	s_mov_b32 s23, -1
	s_mov_b32 s22, 0
	s_mov_b32 s0, s16
	s_branch .LBB17_702
.LBB17_672:
	s_mov_b32 s23, -1
	s_mov_b32 s22, 0
	s_mov_b32 s0, s16
	s_branch .LBB17_685
.LBB17_673:
	s_mov_b32 s23, -1
	s_mov_b32 s22, 0
	s_mov_b32 s0, s16
	s_branch .LBB17_681
.LBB17_674:
	s_mov_b32 s23, -1
	s_mov_b32 s22, 0
	s_mov_b32 s0, s16
.LBB17_675:
	s_and_b32 vcc_lo, exec_lo, s23
	s_cbranch_vccz .LBB17_680
; %bb.676:
	s_cmp_eq_u32 s21, 44
	s_mov_b32 s0, -1
	s_cbranch_scc0 .LBB17_680
; %bb.677:
	v_bfe_u32 v4, v0, 23, 8
	v_mov_b32_e32 v1, 0xff
	s_mov_b32 s22, exec_lo
	v_cmpx_ne_u32_e32 0xff, v4
	s_cbranch_execz .LBB17_679
; %bb.678:
	v_and_b32_e32 v1, 0x400000, v0
	v_and_or_b32 v4, 0x3fffff, v0, v4
	v_cmp_ne_u32_e32 vcc_lo, 0, v1
	v_cmp_ne_u32_e64 s0, 0, v4
	v_lshrrev_b32_e32 v1, 23, v0
	s_and_b32 s0, vcc_lo, s0
	v_cndmask_b32_e64 v4, 0, 1, s0
	v_add_nc_u32_e32 v1, v1, v4
.LBB17_679:
	s_or_b32 exec_lo, exec_lo, s22
	s_mov_b32 s22, -1
	s_mov_b32 s0, 0
	global_store_byte v[2:3], v1, off
.LBB17_680:
	s_mov_b32 s23, 0
.LBB17_681:
	s_and_b32 vcc_lo, exec_lo, s23
	s_cbranch_vccz .LBB17_684
; %bb.682:
	s_cmp_eq_u32 s21, 29
	s_mov_b32 s0, -1
	s_cbranch_scc0 .LBB17_684
; %bb.683:
	v_trunc_f32_e32 v1, v0
	s_mov_b32 s22, -1
	s_mov_b32 s0, 0
	s_mov_b32 s23, 0
	v_mul_f32_e32 v4, 0x2f800000, v1
	v_floor_f32_e32 v4, v4
	v_fmamk_f32 v1, v4, 0xcf800000, v1
	v_cvt_u32_f32_e32 v5, v4
	v_cvt_u32_f32_e32 v4, v1
	global_store_dwordx2 v[2:3], v[4:5], off
	s_branch .LBB17_685
.LBB17_684:
	s_mov_b32 s23, 0
.LBB17_685:
	s_and_b32 vcc_lo, exec_lo, s23
	s_cbranch_vccz .LBB17_701
; %bb.686:
	s_cmp_lt_i32 s21, 27
	s_mov_b32 s22, -1
	s_cbranch_scc1 .LBB17_692
; %bb.687:
	v_cvt_u32_f32_e32 v1, v0
	s_cmp_gt_i32 s21, 27
	s_cbranch_scc0 .LBB17_689
; %bb.688:
	s_mov_b32 s22, 0
	global_store_dword v[2:3], v1, off
.LBB17_689:
	s_andn2_b32 vcc_lo, exec_lo, s22
	s_cbranch_vccnz .LBB17_691
; %bb.690:
	global_store_short v[2:3], v1, off
.LBB17_691:
	s_mov_b32 s22, 0
.LBB17_692:
	s_andn2_b32 vcc_lo, exec_lo, s22
	s_cbranch_vccnz .LBB17_700
; %bb.693:
	v_and_b32_e32 v1, 0x7fffffff, v0
	v_mov_b32_e32 v4, 0x80
	s_mov_b32 s22, exec_lo
	v_cmpx_gt_u32_e32 0x43800000, v1
	s_cbranch_execz .LBB17_699
; %bb.694:
	v_cmp_lt_u32_e32 vcc_lo, 0x3bffffff, v1
	s_mov_b32 s23, 0
                                        ; implicit-def: $vgpr1
	s_and_saveexec_b32 s24, vcc_lo
	s_xor_b32 s24, exec_lo, s24
	s_cbranch_execz .LBB17_801
; %bb.695:
	v_bfe_u32 v1, v0, 20, 1
	s_mov_b32 s23, exec_lo
	v_add3_u32 v1, v0, v1, 0x487ffff
	v_lshrrev_b32_e32 v1, 20, v1
	s_andn2_saveexec_b32 s24, s24
	s_cbranch_execnz .LBB17_802
.LBB17_696:
	s_or_b32 exec_lo, exec_lo, s24
	v_mov_b32_e32 v4, 0
	s_and_saveexec_b32 s24, s23
.LBB17_697:
	v_lshrrev_b32_e32 v4, 24, v0
	v_and_or_b32 v4, 0x80, v4, v1
.LBB17_698:
	s_or_b32 exec_lo, exec_lo, s24
.LBB17_699:
	s_or_b32 exec_lo, exec_lo, s22
	global_store_byte v[2:3], v4, off
.LBB17_700:
	s_mov_b32 s22, -1
.LBB17_701:
	s_mov_b32 s23, 0
.LBB17_702:
	s_and_b32 vcc_lo, exec_lo, s23
	s_cbranch_vccz .LBB17_743
; %bb.703:
	s_cmp_gt_i32 s21, 22
	s_mov_b32 s23, -1
	s_cbranch_scc0 .LBB17_735
; %bb.704:
	s_cmp_lt_i32 s21, 24
	s_mov_b32 s22, -1
	s_cbranch_scc1 .LBB17_724
; %bb.705:
	s_cmp_gt_i32 s21, 24
	s_cbranch_scc0 .LBB17_713
; %bb.706:
	v_and_b32_e32 v1, 0x7fffffff, v0
	v_mov_b32_e32 v4, 0x80
	s_mov_b32 s22, exec_lo
	v_cmpx_gt_u32_e32 0x47800000, v1
	s_cbranch_execz .LBB17_712
; %bb.707:
	v_cmp_lt_u32_e32 vcc_lo, 0x37ffffff, v1
	s_mov_b32 s23, 0
                                        ; implicit-def: $vgpr1
	s_and_saveexec_b32 s24, vcc_lo
	s_xor_b32 s24, exec_lo, s24
	s_cbranch_execz .LBB17_804
; %bb.708:
	v_bfe_u32 v1, v0, 21, 1
	s_mov_b32 s23, exec_lo
	v_add3_u32 v1, v0, v1, 0x88fffff
	v_lshrrev_b32_e32 v1, 21, v1
	s_andn2_saveexec_b32 s24, s24
	s_cbranch_execnz .LBB17_805
.LBB17_709:
	s_or_b32 exec_lo, exec_lo, s24
	v_mov_b32_e32 v4, 0
	s_and_saveexec_b32 s24, s23
.LBB17_710:
	v_lshrrev_b32_e32 v4, 24, v0
	v_and_or_b32 v4, 0x80, v4, v1
.LBB17_711:
	s_or_b32 exec_lo, exec_lo, s24
.LBB17_712:
	s_or_b32 exec_lo, exec_lo, s22
	s_mov_b32 s22, 0
	global_store_byte v[2:3], v4, off
.LBB17_713:
	s_and_b32 vcc_lo, exec_lo, s22
	s_cbranch_vccz .LBB17_723
; %bb.714:
	v_and_b32_e32 v4, 0x7fffffff, v0
	s_mov_b32 s22, exec_lo
                                        ; implicit-def: $vgpr1
	v_cmpx_gt_u32_e32 0x43f00000, v4
	s_xor_b32 s22, exec_lo, s22
	s_cbranch_execz .LBB17_720
; %bb.715:
	s_mov_b32 s23, exec_lo
                                        ; implicit-def: $vgpr1
	v_cmpx_lt_u32_e32 0x3c7fffff, v4
	s_xor_b32 s23, exec_lo, s23
; %bb.716:
	v_bfe_u32 v1, v0, 20, 1
	v_add3_u32 v1, v0, v1, 0x407ffff
	v_and_b32_e32 v4, 0xff00000, v1
	v_lshrrev_b32_e32 v1, 20, v1
	v_cmp_ne_u32_e32 vcc_lo, 0x7f00000, v4
	v_cndmask_b32_e32 v1, 0x7e, v1, vcc_lo
; %bb.717:
	s_andn2_saveexec_b32 s23, s23
; %bb.718:
	v_add_f32_e64 v1, 0x46800000, |v0|
; %bb.719:
	s_or_b32 exec_lo, exec_lo, s23
                                        ; implicit-def: $vgpr4
.LBB17_720:
	s_andn2_saveexec_b32 s22, s22
; %bb.721:
	v_mov_b32_e32 v1, 0x7f
	v_cmp_lt_u32_e32 vcc_lo, 0x7f800000, v4
	v_cndmask_b32_e32 v1, 0x7e, v1, vcc_lo
; %bb.722:
	s_or_b32 exec_lo, exec_lo, s22
	v_lshrrev_b32_e32 v4, 24, v0
	v_and_or_b32 v1, 0x80, v4, v1
	global_store_byte v[2:3], v1, off
.LBB17_723:
	s_mov_b32 s22, 0
.LBB17_724:
	s_andn2_b32 vcc_lo, exec_lo, s22
	s_cbranch_vccnz .LBB17_734
; %bb.725:
	v_and_b32_e32 v4, 0x7fffffff, v0
	s_mov_b32 s22, exec_lo
                                        ; implicit-def: $vgpr1
	v_cmpx_gt_u32_e32 0x47800000, v4
	s_xor_b32 s22, exec_lo, s22
	s_cbranch_execz .LBB17_731
; %bb.726:
	s_mov_b32 s23, exec_lo
                                        ; implicit-def: $vgpr1
	v_cmpx_lt_u32_e32 0x387fffff, v4
	s_xor_b32 s23, exec_lo, s23
; %bb.727:
	v_bfe_u32 v1, v0, 21, 1
	v_add3_u32 v1, v0, v1, 0x80fffff
	v_lshrrev_b32_e32 v1, 21, v1
; %bb.728:
	s_andn2_saveexec_b32 s23, s23
; %bb.729:
	v_add_f32_e64 v1, 0x43000000, |v0|
; %bb.730:
	s_or_b32 exec_lo, exec_lo, s23
                                        ; implicit-def: $vgpr4
.LBB17_731:
	s_andn2_saveexec_b32 s22, s22
; %bb.732:
	v_mov_b32_e32 v1, 0x7f
	v_cmp_lt_u32_e32 vcc_lo, 0x7f800000, v4
	v_cndmask_b32_e32 v1, 0x7c, v1, vcc_lo
; %bb.733:
	s_or_b32 exec_lo, exec_lo, s22
	v_lshrrev_b32_e32 v4, 24, v0
	v_and_or_b32 v1, 0x80, v4, v1
	global_store_byte v[2:3], v1, off
.LBB17_734:
	s_mov_b32 s23, 0
	s_mov_b32 s22, -1
.LBB17_735:
	s_andn2_b32 vcc_lo, exec_lo, s23
	s_cbranch_vccnz .LBB17_743
; %bb.736:
	s_cmp_gt_i32 s21, 14
	s_mov_b32 s23, -1
	s_cbranch_scc0 .LBB17_740
; %bb.737:
	s_cmp_eq_u32 s21, 15
	s_mov_b32 s0, -1
	s_cbranch_scc0 .LBB17_739
; %bb.738:
	v_bfe_u32 v1, v0, 16, 1
	v_cmp_o_f32_e32 vcc_lo, v0, v0
	v_mov_b32_e32 v4, 0x7fc0
	s_mov_b32 s22, -1
	s_mov_b32 s0, 0
	v_add3_u32 v1, v0, v1, 0x7fff
	v_cndmask_b32_sdwa v1, v4, v1, vcc_lo dst_sel:DWORD dst_unused:UNUSED_PAD src0_sel:DWORD src1_sel:WORD_1
	global_store_short v[2:3], v1, off
.LBB17_739:
	s_mov_b32 s23, 0
.LBB17_740:
	s_and_b32 vcc_lo, exec_lo, s23
	s_cbranch_vccz .LBB17_743
; %bb.741:
	s_cmp_eq_u32 s21, 11
	s_mov_b32 s0, -1
	s_cbranch_scc0 .LBB17_743
; %bb.742:
	v_cmp_neq_f32_e32 vcc_lo, 0, v0
	s_mov_b32 s0, 0
	s_mov_b32 s22, -1
	v_cndmask_b32_e64 v1, 0, 1, vcc_lo
	global_store_byte v[2:3], v1, off
.LBB17_743:
	s_mov_b32 s21, 0
.LBB17_744:
	s_and_b32 vcc_lo, exec_lo, s21
	s_cbranch_vccz .LBB17_783
; %bb.745:
	s_and_b32 s20, 0xffff, s20
	s_mov_b32 s21, -1
	s_cmp_lt_i32 s20, 5
	s_cbranch_scc1 .LBB17_766
; %bb.746:
	s_cmp_lt_i32 s20, 8
	s_cbranch_scc1 .LBB17_756
; %bb.747:
	s_cmp_lt_i32 s20, 9
	s_cbranch_scc1 .LBB17_753
; %bb.748:
	s_cmp_gt_i32 s20, 9
	s_cbranch_scc0 .LBB17_750
; %bb.749:
	v_cvt_f64_f32_e32 v[8:9], v0
	v_mov_b32_e32 v10, 0
	s_mov_b32 s21, 0
	v_mov_b32_e32 v11, v10
	global_store_dwordx4 v[2:3], v[8:11], off
.LBB17_750:
	s_andn2_b32 vcc_lo, exec_lo, s21
	s_cbranch_vccnz .LBB17_752
; %bb.751:
	v_mov_b32_e32 v1, 0
	global_store_dwordx2 v[2:3], v[0:1], off
.LBB17_752:
	s_mov_b32 s21, 0
.LBB17_753:
	s_andn2_b32 vcc_lo, exec_lo, s21
	s_cbranch_vccnz .LBB17_755
; %bb.754:
	v_cvt_f16_f32_e32 v1, v0
	v_and_b32_e32 v1, 0xffff, v1
	global_store_dword v[2:3], v1, off
.LBB17_755:
	s_mov_b32 s21, 0
.LBB17_756:
	s_andn2_b32 vcc_lo, exec_lo, s21
	s_cbranch_vccnz .LBB17_765
; %bb.757:
	s_cmp_lt_i32 s20, 6
	s_mov_b32 s21, -1
	s_cbranch_scc1 .LBB17_763
; %bb.758:
	s_cmp_gt_i32 s20, 6
	s_cbranch_scc0 .LBB17_760
; %bb.759:
	v_cvt_f64_f32_e32 v[4:5], v0
	s_mov_b32 s21, 0
	global_store_dwordx2 v[2:3], v[4:5], off
.LBB17_760:
	s_andn2_b32 vcc_lo, exec_lo, s21
	s_cbranch_vccnz .LBB17_762
; %bb.761:
	global_store_dword v[2:3], v0, off
.LBB17_762:
	s_mov_b32 s21, 0
.LBB17_763:
	s_andn2_b32 vcc_lo, exec_lo, s21
	s_cbranch_vccnz .LBB17_765
; %bb.764:
	v_cvt_f16_f32_e32 v1, v0
	global_store_short v[2:3], v1, off
.LBB17_765:
	s_mov_b32 s21, 0
.LBB17_766:
	s_andn2_b32 vcc_lo, exec_lo, s21
	s_cbranch_vccnz .LBB17_782
; %bb.767:
	s_cmp_lt_i32 s20, 2
	s_mov_b32 s21, -1
	s_cbranch_scc1 .LBB17_777
; %bb.768:
	s_cmp_lt_i32 s20, 3
	s_cbranch_scc1 .LBB17_774
; %bb.769:
	s_cmp_gt_i32 s20, 3
	s_cbranch_scc0 .LBB17_771
; %bb.770:
	v_trunc_f32_e32 v1, v0
	s_mov_b32 s21, 0
	v_mul_f32_e64 v4, 0x2f800000, |v1|
	v_floor_f32_e32 v4, v4
	v_fma_f32 v5, 0xcf800000, v4, |v1|
	v_ashrrev_i32_e32 v1, 31, v1
	v_cvt_u32_f32_e32 v4, v4
	v_cvt_u32_f32_e32 v5, v5
	v_xor_b32_e32 v6, v4, v1
	v_xor_b32_e32 v5, v5, v1
	v_sub_co_u32 v4, vcc_lo, v5, v1
	v_sub_co_ci_u32_e64 v5, null, v6, v1, vcc_lo
	global_store_dwordx2 v[2:3], v[4:5], off
.LBB17_771:
	s_andn2_b32 vcc_lo, exec_lo, s21
	s_cbranch_vccnz .LBB17_773
; %bb.772:
	v_cvt_i32_f32_e32 v1, v0
	global_store_dword v[2:3], v1, off
.LBB17_773:
	s_mov_b32 s21, 0
.LBB17_774:
	s_andn2_b32 vcc_lo, exec_lo, s21
	s_cbranch_vccnz .LBB17_776
; %bb.775:
	v_cvt_i32_f32_e32 v1, v0
	global_store_short v[2:3], v1, off
.LBB17_776:
	s_mov_b32 s21, 0
.LBB17_777:
	s_andn2_b32 vcc_lo, exec_lo, s21
	s_cbranch_vccnz .LBB17_782
; %bb.778:
	s_cmp_gt_i32 s20, 0
	s_mov_b32 s20, -1
	s_cbranch_scc0 .LBB17_780
; %bb.779:
	v_cvt_i32_f32_e32 v1, v0
	s_mov_b32 s20, 0
	global_store_byte v[2:3], v1, off
.LBB17_780:
	s_andn2_b32 vcc_lo, exec_lo, s20
	s_cbranch_vccnz .LBB17_782
; %bb.781:
	v_trunc_f32_e32 v0, v0
	v_mul_f32_e64 v1, 0x2f800000, |v0|
	v_floor_f32_e32 v1, v1
	v_fma_f32 v1, 0xcf800000, v1, |v0|
	v_ashrrev_i32_e32 v0, 31, v0
	v_cvt_u32_f32_e32 v1, v1
	v_xor_b32_e32 v1, v1, v0
	v_sub_nc_u32_e32 v0, v1, v0
	global_store_byte v[2:3], v0, off
.LBB17_782:
	s_mov_b32 s22, -1
.LBB17_783:
	s_andn2_b32 vcc_lo, exec_lo, s22
	s_cbranch_vccnz .LBB17_785
; %bb.784:
	v_add_nc_u32_e32 v7, 0x80, v7
	s_mov_b32 s20, -1
	s_branch .LBB17_787
.LBB17_785:
	s_mov_b32 s20, 0
.LBB17_786:
                                        ; implicit-def: $vgpr7
.LBB17_787:
	s_andn2_b32 s21, s16, exec_lo
	s_and_b32 s0, s0, exec_lo
	s_andn2_b32 s22, s15, exec_lo
	s_and_b32 s23, s19, exec_lo
	s_or_b32 s19, s21, s0
	s_or_b32 s0, s22, s23
	s_orn2_b32 s20, s20, exec_lo
.LBB17_788:
	s_or_b32 exec_lo, exec_lo, s18
	s_mov_b32 s21, 0
	s_mov_b32 s22, 0
	;; [unrolled: 1-line block ×3, first 2 shown]
                                        ; implicit-def: $vgpr0_vgpr1
                                        ; implicit-def: $vgpr4
	s_and_saveexec_b32 s18, s20
	s_cbranch_execz .LBB17_873
; %bb.789:
	v_cmp_gt_i32_e32 vcc_lo, s12, v7
	s_mov_b32 s20, 0
	s_mov_b32 s21, s0
	;; [unrolled: 1-line block ×3, first 2 shown]
                                        ; implicit-def: $vgpr0_vgpr1
                                        ; implicit-def: $vgpr4
	s_and_saveexec_b32 s12, vcc_lo
	s_cbranch_execz .LBB17_872
; %bb.790:
	v_mul_lo_u32 v0, v7, s3
	s_and_b32 s20, 0xffff, s5
	s_cmp_lt_i32 s20, 11
	v_ashrrev_i32_e32 v1, 31, v0
	v_add_co_u32 v0, vcc_lo, s10, v0
	v_add_co_ci_u32_e64 v1, null, s11, v1, vcc_lo
	s_cbranch_scc1 .LBB17_797
; %bb.791:
	s_cmp_gt_i32 s20, 25
	s_cbranch_scc0 .LBB17_798
; %bb.792:
	s_cmp_gt_i32 s20, 28
	s_cbranch_scc0 .LBB17_799
	;; [unrolled: 3-line block ×4, first 2 shown]
; %bb.795:
	s_cmp_eq_u32 s20, 46
	s_cbranch_scc0 .LBB17_806
; %bb.796:
	global_load_dword v2, v[0:1], off
	s_mov_b32 s21, 0
	s_mov_b32 s23, -1
	s_waitcnt vmcnt(0)
	v_lshlrev_b32_e32 v4, 16, v2
	s_branch .LBB17_808
.LBB17_797:
	s_mov_b32 s20, -1
	s_mov_b32 s21, s0
                                        ; implicit-def: $vgpr4
	s_branch .LBB17_871
.LBB17_798:
	s_mov_b32 s24, -1
	s_mov_b32 s21, s0
                                        ; implicit-def: $vgpr4
	s_branch .LBB17_837
.LBB17_799:
	s_mov_b32 s24, -1
	s_mov_b32 s21, s0
                                        ; implicit-def: $vgpr4
	s_branch .LBB17_818
.LBB17_800:
	s_mov_b32 s24, -1
	s_mov_b32 s21, s0
                                        ; implicit-def: $vgpr4
	s_branch .LBB17_813
.LBB17_801:
	s_andn2_saveexec_b32 s24, s24
	s_cbranch_execz .LBB17_696
.LBB17_802:
	v_add_f32_e64 v1, 0x46000000, |v0|
	s_andn2_b32 s23, s23, exec_lo
	v_and_b32_e32 v1, 0xff, v1
	v_cmp_ne_u32_e32 vcc_lo, 0, v1
	s_and_b32 s25, vcc_lo, exec_lo
	s_or_b32 s23, s23, s25
	s_or_b32 exec_lo, exec_lo, s24
	v_mov_b32_e32 v4, 0
	s_and_saveexec_b32 s24, s23
	s_cbranch_execnz .LBB17_697
	s_branch .LBB17_698
.LBB17_803:
	s_mov_b32 s24, -1
	s_mov_b32 s21, s0
	s_branch .LBB17_807
.LBB17_804:
	s_andn2_saveexec_b32 s24, s24
	s_cbranch_execz .LBB17_709
.LBB17_805:
	v_add_f32_e64 v1, 0x42800000, |v0|
	s_andn2_b32 s23, s23, exec_lo
	v_and_b32_e32 v1, 0xff, v1
	v_cmp_ne_u32_e32 vcc_lo, 0, v1
	s_and_b32 s25, vcc_lo, exec_lo
	s_or_b32 s23, s23, s25
	s_or_b32 exec_lo, exec_lo, s24
	v_mov_b32_e32 v4, 0
	s_and_saveexec_b32 s24, s23
	s_cbranch_execnz .LBB17_710
	s_branch .LBB17_711
.LBB17_806:
	s_mov_b32 s21, -1
.LBB17_807:
                                        ; implicit-def: $vgpr4
.LBB17_808:
	s_and_b32 vcc_lo, exec_lo, s24
	s_cbranch_vccz .LBB17_812
; %bb.809:
	s_cmp_eq_u32 s20, 44
	s_cbranch_scc0 .LBB17_811
; %bb.810:
	global_load_ubyte v2, v[0:1], off
	s_mov_b32 s21, 0
	s_mov_b32 s23, -1
	s_waitcnt vmcnt(0)
	v_lshlrev_b32_e32 v3, 23, v2
	v_cmp_ne_u32_e32 vcc_lo, 0xff, v2
	v_cndmask_b32_e32 v3, 0x7f800001, v3, vcc_lo
	v_cmp_ne_u32_e32 vcc_lo, 0, v2
	v_cndmask_b32_e32 v4, 0x400000, v3, vcc_lo
	s_branch .LBB17_812
.LBB17_811:
	s_mov_b32 s21, -1
                                        ; implicit-def: $vgpr4
.LBB17_812:
	s_mov_b32 s24, 0
.LBB17_813:
	s_and_b32 vcc_lo, exec_lo, s24
	s_cbranch_vccz .LBB17_817
; %bb.814:
	s_cmp_eq_u32 s20, 29
	s_cbranch_scc0 .LBB17_816
; %bb.815:
	global_load_dwordx2 v[2:3], v[0:1], off
	s_mov_b32 s21, 0
	s_mov_b32 s23, -1
	s_mov_b32 s24, 0
	s_waitcnt vmcnt(0)
	v_ffbh_u32_e32 v4, v3
	v_min_u32_e32 v4, 32, v4
	v_lshlrev_b64 v[2:3], v4, v[2:3]
	v_min_u32_e32 v2, 1, v2
	v_or_b32_e32 v2, v3, v2
	v_sub_nc_u32_e32 v3, 32, v4
	v_cvt_f32_u32_e32 v2, v2
	v_ldexp_f32 v4, v2, v3
	s_branch .LBB17_818
.LBB17_816:
	s_mov_b32 s21, -1
                                        ; implicit-def: $vgpr4
.LBB17_817:
	s_mov_b32 s24, 0
.LBB17_818:
	s_and_b32 vcc_lo, exec_lo, s24
	s_cbranch_vccz .LBB17_836
; %bb.819:
	s_cmp_lt_i32 s20, 27
	s_cbranch_scc1 .LBB17_822
; %bb.820:
	s_cmp_gt_i32 s20, 27
	s_cbranch_scc0 .LBB17_823
; %bb.821:
	global_load_dword v2, v[0:1], off
	s_mov_b32 s23, 0
	s_waitcnt vmcnt(0)
	v_cvt_f32_u32_e32 v4, v2
	s_branch .LBB17_824
.LBB17_822:
	s_mov_b32 s23, -1
                                        ; implicit-def: $vgpr4
	s_branch .LBB17_827
.LBB17_823:
	s_mov_b32 s23, -1
                                        ; implicit-def: $vgpr4
.LBB17_824:
	s_andn2_b32 vcc_lo, exec_lo, s23
	s_cbranch_vccnz .LBB17_826
; %bb.825:
	global_load_ushort v2, v[0:1], off
	s_waitcnt vmcnt(0)
	v_cvt_f32_u32_e32 v4, v2
.LBB17_826:
	s_mov_b32 s23, 0
.LBB17_827:
	s_andn2_b32 vcc_lo, exec_lo, s23
	s_cbranch_vccnz .LBB17_835
; %bb.828:
	global_load_ubyte v2, v[0:1], off
	s_mov_b32 s23, 0
	s_mov_b32 s24, exec_lo
	s_waitcnt vmcnt(0)
	v_cmpx_lt_i16_e32 0x7f, v2
	s_xor_b32 s24, exec_lo, s24
	s_cbranch_execz .LBB17_849
; %bb.829:
	s_mov_b32 s23, -1
	s_mov_b32 s25, exec_lo
	v_cmpx_eq_u16_e32 0x80, v2
; %bb.830:
	s_xor_b32 s23, exec_lo, -1
; %bb.831:
	s_or_b32 exec_lo, exec_lo, s25
	s_and_b32 s23, s23, exec_lo
	s_or_saveexec_b32 s24, s24
	v_mov_b32_e32 v4, 0x7f800001
	s_xor_b32 exec_lo, exec_lo, s24
	s_cbranch_execnz .LBB17_850
.LBB17_832:
	s_or_b32 exec_lo, exec_lo, s24
	s_and_saveexec_b32 s24, s23
	s_cbranch_execz .LBB17_834
.LBB17_833:
	v_and_b32_e32 v3, 0xffff, v2
	v_lshlrev_b32_e32 v2, 24, v2
	v_and_b32_e32 v4, 7, v3
	v_bfe_u32 v8, v3, 3, 4
	v_and_b32_e32 v2, 0x80000000, v2
	v_ffbh_u32_e32 v5, v4
	v_cmp_eq_u32_e32 vcc_lo, 0, v8
	v_min_u32_e32 v5, 32, v5
	v_subrev_nc_u32_e32 v6, 28, v5
	v_sub_nc_u32_e32 v5, 29, v5
	v_lshlrev_b32_e32 v3, v6, v3
	v_cndmask_b32_e32 v5, v8, v5, vcc_lo
	v_and_b32_e32 v3, 7, v3
	v_cndmask_b32_e32 v3, v4, v3, vcc_lo
	v_lshl_add_u32 v4, v5, 23, 0x3b800000
	v_lshlrev_b32_e32 v3, 20, v3
	v_or3_b32 v4, v2, v4, v3
.LBB17_834:
	s_or_b32 exec_lo, exec_lo, s24
.LBB17_835:
	s_mov_b32 s23, -1
.LBB17_836:
	s_mov_b32 s24, 0
.LBB17_837:
	s_and_b32 vcc_lo, exec_lo, s24
	s_cbranch_vccz .LBB17_870
; %bb.838:
	s_cmp_gt_i32 s20, 22
	s_cbranch_scc0 .LBB17_848
; %bb.839:
	s_cmp_lt_i32 s20, 24
	s_cbranch_scc1 .LBB17_851
; %bb.840:
	s_cmp_gt_i32 s20, 24
	s_cbranch_scc0 .LBB17_852
; %bb.841:
	global_load_ubyte v2, v[0:1], off
	s_mov_b32 s23, exec_lo
	s_waitcnt vmcnt(0)
	v_cmpx_lt_i16_e32 0x7f, v2
	s_xor_b32 s23, exec_lo, s23
	s_cbranch_execz .LBB17_864
; %bb.842:
	s_mov_b32 s22, -1
	s_mov_b32 s24, exec_lo
	v_cmpx_eq_u16_e32 0x80, v2
; %bb.843:
	s_xor_b32 s22, exec_lo, -1
; %bb.844:
	s_or_b32 exec_lo, exec_lo, s24
	s_and_b32 s22, s22, exec_lo
	s_or_saveexec_b32 s23, s23
	v_mov_b32_e32 v4, 0x7f800001
	s_xor_b32 exec_lo, exec_lo, s23
	s_cbranch_execnz .LBB17_865
.LBB17_845:
	s_or_b32 exec_lo, exec_lo, s23
	s_and_saveexec_b32 s23, s22
	s_cbranch_execz .LBB17_847
.LBB17_846:
	v_and_b32_e32 v3, 0xffff, v2
	v_lshlrev_b32_e32 v2, 24, v2
	v_and_b32_e32 v4, 3, v3
	v_bfe_u32 v8, v3, 2, 5
	v_and_b32_e32 v2, 0x80000000, v2
	v_ffbh_u32_e32 v5, v4
	v_cmp_eq_u32_e32 vcc_lo, 0, v8
	v_min_u32_e32 v5, 32, v5
	v_subrev_nc_u32_e32 v6, 29, v5
	v_sub_nc_u32_e32 v5, 30, v5
	v_lshlrev_b32_e32 v3, v6, v3
	v_cndmask_b32_e32 v5, v8, v5, vcc_lo
	v_and_b32_e32 v3, 3, v3
	v_cndmask_b32_e32 v3, v4, v3, vcc_lo
	v_lshl_add_u32 v4, v5, 23, 0x37800000
	v_lshlrev_b32_e32 v3, 21, v3
	v_or3_b32 v4, v2, v4, v3
.LBB17_847:
	s_or_b32 exec_lo, exec_lo, s23
	s_mov_b32 s22, 0
	s_branch .LBB17_853
.LBB17_848:
	s_mov_b32 s22, -1
                                        ; implicit-def: $vgpr4
	s_branch .LBB17_859
.LBB17_849:
	s_or_saveexec_b32 s24, s24
	v_mov_b32_e32 v4, 0x7f800001
	s_xor_b32 exec_lo, exec_lo, s24
	s_cbranch_execz .LBB17_832
.LBB17_850:
	v_cmp_ne_u16_e32 vcc_lo, 0, v2
	v_mov_b32_e32 v4, 0
	s_andn2_b32 s23, s23, exec_lo
	s_and_b32 s25, vcc_lo, exec_lo
	s_or_b32 s23, s23, s25
	s_or_b32 exec_lo, exec_lo, s24
	s_and_saveexec_b32 s24, s23
	s_cbranch_execnz .LBB17_833
	s_branch .LBB17_834
.LBB17_851:
	s_mov_b32 s22, -1
                                        ; implicit-def: $vgpr4
	s_branch .LBB17_856
.LBB17_852:
	s_mov_b32 s22, -1
                                        ; implicit-def: $vgpr4
.LBB17_853:
	s_and_b32 vcc_lo, exec_lo, s22
	s_cbranch_vccz .LBB17_855
; %bb.854:
	global_load_ubyte v2, v[0:1], off
	s_waitcnt vmcnt(0)
	v_lshlrev_b32_e32 v2, 24, v2
	v_and_b32_e32 v3, 0x7f000000, v2
	v_ffbh_u32_e32 v4, v3
	v_add_nc_u32_e32 v6, 0x1000000, v3
	v_cmp_ne_u32_e32 vcc_lo, 0, v3
	v_min_u32_e32 v4, 32, v4
	v_sub_nc_u32_e64 v4, v4, 4 clamp
	v_lshlrev_b32_e32 v5, v4, v3
	v_lshlrev_b32_e32 v4, 23, v4
	v_lshrrev_b32_e32 v5, 4, v5
	v_sub_nc_u32_e32 v4, v5, v4
	v_ashrrev_i32_e32 v5, 8, v6
	v_add_nc_u32_e32 v4, 0x3c000000, v4
	v_and_or_b32 v4, 0x7f800000, v5, v4
	v_cndmask_b32_e32 v3, 0, v4, vcc_lo
	v_and_or_b32 v4, 0x80000000, v2, v3
.LBB17_855:
	s_mov_b32 s22, 0
.LBB17_856:
	s_andn2_b32 vcc_lo, exec_lo, s22
	s_cbranch_vccnz .LBB17_858
; %bb.857:
	global_load_ubyte v2, v[0:1], off
	s_waitcnt vmcnt(0)
	v_lshlrev_b32_e32 v3, 25, v2
	v_lshlrev_b16 v2, 8, v2
	v_lshrrev_b32_e32 v4, 4, v3
	v_and_or_b32 v5, 0x7f00, v2, 0.5
	v_cmp_gt_u32_e32 vcc_lo, 0x8000000, v3
	v_bfe_i32 v2, v2, 0, 16
	v_or_b32_e32 v4, 0x70000000, v4
	v_add_f32_e32 v5, -0.5, v5
	v_mul_f32_e32 v4, 0x7800000, v4
	v_cndmask_b32_e32 v3, v4, v5, vcc_lo
	v_and_or_b32 v4, 0x80000000, v2, v3
.LBB17_858:
	s_mov_b32 s22, 0
	s_mov_b32 s23, -1
.LBB17_859:
	s_andn2_b32 vcc_lo, exec_lo, s22
	s_mov_b32 s22, 0
	s_cbranch_vccnz .LBB17_870
; %bb.860:
	s_cmp_gt_i32 s20, 14
	s_cbranch_scc0 .LBB17_863
; %bb.861:
	s_cmp_eq_u32 s20, 15
	s_cbranch_scc0 .LBB17_866
; %bb.862:
	global_load_ushort v2, v[0:1], off
	s_mov_b32 s21, 0
	s_mov_b32 s23, -1
	s_waitcnt vmcnt(0)
	v_lshlrev_b32_e32 v4, 16, v2
	s_branch .LBB17_868
.LBB17_863:
	s_mov_b32 s22, -1
	s_branch .LBB17_867
.LBB17_864:
	s_or_saveexec_b32 s23, s23
	v_mov_b32_e32 v4, 0x7f800001
	s_xor_b32 exec_lo, exec_lo, s23
	s_cbranch_execz .LBB17_845
.LBB17_865:
	v_cmp_ne_u16_e32 vcc_lo, 0, v2
	v_mov_b32_e32 v4, 0
	s_andn2_b32 s22, s22, exec_lo
	s_and_b32 s24, vcc_lo, exec_lo
	s_or_b32 s22, s22, s24
	s_or_b32 exec_lo, exec_lo, s23
	s_and_saveexec_b32 s23, s22
	s_cbranch_execnz .LBB17_846
	s_branch .LBB17_847
.LBB17_866:
	s_mov_b32 s21, -1
.LBB17_867:
                                        ; implicit-def: $vgpr4
.LBB17_868:
	s_and_b32 vcc_lo, exec_lo, s22
	s_mov_b32 s22, 0
	s_cbranch_vccz .LBB17_870
; %bb.869:
	s_cmp_lg_u32 s20, 11
	s_mov_b32 s22, -1
	s_cselect_b32 s20, -1, 0
	s_andn2_b32 s21, s21, exec_lo
	s_and_b32 s20, s20, exec_lo
	s_or_b32 s21, s21, s20
.LBB17_870:
	s_mov_b32 s20, 0
.LBB17_871:
	s_andn2_b32 s25, s0, exec_lo
	s_and_b32 s21, s21, exec_lo
	s_and_b32 s23, s23, exec_lo
	;; [unrolled: 1-line block ×4, first 2 shown]
	s_or_b32 s21, s25, s21
.LBB17_872:
	s_or_b32 exec_lo, exec_lo, s12
	s_andn2_b32 s0, s0, exec_lo
	s_and_b32 s12, s21, exec_lo
	s_and_b32 s23, s23, exec_lo
	;; [unrolled: 1-line block ×4, first 2 shown]
	s_or_b32 s0, s0, s12
.LBB17_873:
	s_or_b32 exec_lo, exec_lo, s18
	s_andn2_b32 s12, s16, exec_lo
	s_and_b32 s16, s19, exec_lo
	s_and_b32 s0, s0, exec_lo
	s_or_b32 s16, s12, s16
	s_andn2_b32 s12, s15, exec_lo
	s_and_b32 s20, s23, exec_lo
	s_and_b32 s19, s22, exec_lo
	;; [unrolled: 1-line block ×3, first 2 shown]
	s_or_b32 s15, s12, s0
.LBB17_874:
	s_or_b32 exec_lo, exec_lo, s17
	s_andn2_b32 s0, s7, exec_lo
	s_and_b32 s7, s16, exec_lo
	s_andn2_b32 s12, s13, exec_lo
	s_and_b32 s13, s15, exec_lo
	s_or_b32 s7, s0, s7
	s_and_b32 s0, s20, exec_lo
	s_and_b32 s16, s19, exec_lo
	;; [unrolled: 1-line block ×3, first 2 shown]
	s_or_b32 s13, s12, s13
	s_or_b32 exec_lo, exec_lo, s14
	s_mov_b32 s12, 0
	s_and_saveexec_b32 s14, s13
	s_cbranch_execz .LBB17_266
.LBB17_875:
	s_mov_b32 s12, exec_lo
	s_andn2_b32 s15, s15, exec_lo
	s_trap 2
	s_or_b32 exec_lo, exec_lo, s14
	s_and_saveexec_b32 s13, s15
	s_xor_b32 s13, exec_lo, s13
	s_cbranch_execnz .LBB17_267
.LBB17_876:
	s_or_b32 exec_lo, exec_lo, s13
	s_and_saveexec_b32 s13, s16
	s_cbranch_execz .LBB17_922
.LBB17_877:
	s_sext_i32_i16 s14, s5
	s_cmp_lt_i32 s14, 5
	s_cbranch_scc1 .LBB17_882
; %bb.878:
	s_cmp_lt_i32 s14, 8
	s_cbranch_scc1 .LBB17_883
; %bb.879:
	;; [unrolled: 3-line block ×3, first 2 shown]
	s_cmp_gt_i32 s14, 9
	s_cbranch_scc0 .LBB17_885
; %bb.881:
	global_load_dwordx2 v[2:3], v[0:1], off
	s_mov_b32 s14, 0
	s_waitcnt vmcnt(0)
	v_cvt_f32_f64_e32 v4, v[2:3]
	s_branch .LBB17_886
.LBB17_882:
                                        ; implicit-def: $vgpr4
	s_branch .LBB17_903
.LBB17_883:
                                        ; implicit-def: $vgpr4
	s_branch .LBB17_892
.LBB17_884:
	s_mov_b32 s14, -1
                                        ; implicit-def: $vgpr4
	s_branch .LBB17_889
.LBB17_885:
	s_mov_b32 s14, -1
                                        ; implicit-def: $vgpr4
.LBB17_886:
	s_andn2_b32 vcc_lo, exec_lo, s14
	s_cbranch_vccnz .LBB17_888
; %bb.887:
	global_load_dword v4, v[0:1], off
.LBB17_888:
	s_mov_b32 s14, 0
.LBB17_889:
	s_andn2_b32 vcc_lo, exec_lo, s14
	s_cbranch_vccnz .LBB17_891
; %bb.890:
	global_load_dword v2, v[0:1], off
	s_waitcnt vmcnt(0)
	v_cvt_f32_f16_e32 v4, v2
.LBB17_891:
	s_cbranch_execnz .LBB17_902
.LBB17_892:
	s_sext_i32_i16 s14, s5
	s_cmp_lt_i32 s14, 6
	s_cbranch_scc1 .LBB17_895
; %bb.893:
	s_cmp_gt_i32 s14, 6
	s_cbranch_scc0 .LBB17_896
; %bb.894:
	global_load_dwordx2 v[2:3], v[0:1], off
	s_mov_b32 s14, 0
	s_waitcnt vmcnt(0)
	v_cvt_f32_f64_e32 v4, v[2:3]
	s_branch .LBB17_897
.LBB17_895:
	s_mov_b32 s14, -1
                                        ; implicit-def: $vgpr4
	s_branch .LBB17_900
.LBB17_896:
	s_mov_b32 s14, -1
                                        ; implicit-def: $vgpr4
.LBB17_897:
	s_andn2_b32 vcc_lo, exec_lo, s14
	s_cbranch_vccnz .LBB17_899
; %bb.898:
	global_load_dword v4, v[0:1], off
.LBB17_899:
	s_mov_b32 s14, 0
.LBB17_900:
	s_andn2_b32 vcc_lo, exec_lo, s14
	s_cbranch_vccnz .LBB17_902
; %bb.901:
	global_load_ushort v2, v[0:1], off
	s_waitcnt vmcnt(0)
	v_cvt_f32_f16_e32 v4, v2
.LBB17_902:
	s_cbranch_execnz .LBB17_921
.LBB17_903:
	s_sext_i32_i16 s14, s5
	s_cmp_lt_i32 s14, 2
	s_cbranch_scc1 .LBB17_907
; %bb.904:
	s_cmp_lt_i32 s14, 3
	s_cbranch_scc1 .LBB17_908
; %bb.905:
	s_cmp_gt_i32 s14, 3
	s_cbranch_scc0 .LBB17_909
; %bb.906:
	global_load_dwordx2 v[2:3], v[0:1], off
	s_mov_b32 s14, 0
	s_waitcnt vmcnt(0)
	v_xor_b32_e32 v4, v2, v3
	v_ffbh_i32_e32 v5, v3
	v_ashrrev_i32_e32 v4, 31, v4
	v_add_nc_u32_e32 v5, -1, v5
	v_add_nc_u32_e32 v4, 32, v4
	v_min_u32_e32 v4, v5, v4
	v_lshlrev_b64 v[2:3], v4, v[2:3]
	v_min_u32_e32 v2, 1, v2
	v_or_b32_e32 v2, v3, v2
	v_sub_nc_u32_e32 v3, 32, v4
	v_cvt_f32_i32_e32 v2, v2
	v_ldexp_f32 v4, v2, v3
	s_branch .LBB17_910
.LBB17_907:
                                        ; implicit-def: $vgpr4
	s_branch .LBB17_916
.LBB17_908:
	s_mov_b32 s14, -1
                                        ; implicit-def: $vgpr4
	s_branch .LBB17_913
.LBB17_909:
	s_mov_b32 s14, -1
                                        ; implicit-def: $vgpr4
.LBB17_910:
	s_andn2_b32 vcc_lo, exec_lo, s14
	s_cbranch_vccnz .LBB17_912
; %bb.911:
	global_load_dword v2, v[0:1], off
	s_waitcnt vmcnt(0)
	v_cvt_f32_i32_e32 v4, v2
.LBB17_912:
	s_mov_b32 s14, 0
.LBB17_913:
	s_andn2_b32 vcc_lo, exec_lo, s14
	s_cbranch_vccnz .LBB17_915
; %bb.914:
	global_load_sshort v2, v[0:1], off
	s_waitcnt vmcnt(0)
	v_cvt_f32_i32_e32 v4, v2
.LBB17_915:
	s_cbranch_execnz .LBB17_921
.LBB17_916:
	s_sext_i32_i16 s14, s5
	s_cmp_gt_i32 s14, 0
	s_mov_b32 s14, 0
	s_cbranch_scc0 .LBB17_918
; %bb.917:
	global_load_sbyte v2, v[0:1], off
	s_waitcnt vmcnt(0)
	v_cvt_f32_i32_e32 v4, v2
	s_branch .LBB17_919
.LBB17_918:
	s_mov_b32 s14, -1
                                        ; implicit-def: $vgpr4
.LBB17_919:
	s_andn2_b32 vcc_lo, exec_lo, s14
	s_cbranch_vccnz .LBB17_921
; %bb.920:
	global_load_ubyte v0, v[0:1], off
	s_waitcnt vmcnt(0)
	v_cvt_f32_ubyte0_e32 v4, v0
.LBB17_921:
	s_or_b32 s0, s0, exec_lo
.LBB17_922:
	s_or_b32 exec_lo, exec_lo, s13
	s_mov_b32 s16, 0
	s_mov_b32 s15, 0
                                        ; implicit-def: $sgpr13
                                        ; implicit-def: $vgpr2_vgpr3
                                        ; implicit-def: $vgpr0
	s_and_saveexec_b32 s14, s0
	s_cbranch_execz .LBB17_934
; %bb.923:
	s_waitcnt vmcnt(0)
	v_cmp_ge_f32_e64 s0, 0x41000000, |v4|
	v_mul_f32_e64 v1, 0x3fb8aa3b, |v4|
                                        ; implicit-def: $vgpr0
	s_and_saveexec_b32 s13, s0
	s_xor_b32 s0, exec_lo, s13
	s_cbranch_execz .LBB17_925
; %bb.924:
	v_fma_f32 v0, |v4|, 0.5, -2.0
	s_mov_b32 s13, 0xa2a2e5b9
	v_rndne_f32_e32 v5, v1
	v_fma_f32 v6, 0x3fb8aa3b, |v4|, -v1
	v_cmp_ngt_f32_e64 vcc_lo, 0xc2ce8ed0, |v4|
	v_fmaak_f32 v2, s13, v0, 0x24199b15
	v_sub_f32_e32 v1, v1, v5
	v_fma_f32 v6, 0x32a5705f, |v4|, v6
	v_cvt_i32_f32_e32 v5, v5
	v_fmaak_f32 v3, v0, v2, 0x22a2e5b9
	v_add_f32_e32 v1, v1, v6
	v_add_f32_e32 v3, 0xa58c275c, v3
	v_exp_f32_e32 v1, v1
	v_fma_f32 v2, v0, v3, -v2
	v_add_f32_e32 v2, 0x26f736c5, v2
	v_ldexp_f32 v1, v1, v5
	v_fma_f32 v3, v0, v2, -v3
	v_cndmask_b32_e32 v1, 0, v1, vcc_lo
	v_cmp_nlt_f32_e64 vcc_lo, 0x42b17218, |v4|
	v_add_f32_e32 v3, 0xa8528116, v3
                                        ; implicit-def: $vgpr4
	v_cndmask_b32_e32 v1, 0x7f800000, v1, vcc_lo
	v_fma_f32 v2, v0, v3, -v2
	v_add_f32_e32 v2, 0x29acda32, v2
	v_fma_f32 v3, v0, v2, -v3
	v_add_f32_e32 v3, 0xab08b263, v3
	;; [unrolled: 2-line block ×25, first 2 shown]
	v_sub_f32_e32 v0, v0, v2
	v_mul_f32_e32 v0, 0.5, v0
	v_mul_f32_e32 v0, v1, v0
                                        ; implicit-def: $vgpr1
.LBB17_925:
	s_andn2_saveexec_b32 s13, s0
	s_cbranch_execz .LBB17_927
; %bb.926:
	v_and_b32_e32 v0, 0x7fffffff, v4
	s_mov_b32 s0, 0xa3056dbb
	v_fma_f32 v8, 0x3fb8aa3b, |v4|, -v1
	v_div_scale_f32 v2, null, v0, v0, 0x42000000
	v_div_scale_f32 v0, vcc_lo, 0x42000000, v0, 0x42000000
	v_fma_f32 v8, 0x32a5705f, |v4|, v8
	v_rcp_f32_e32 v3, v2
	v_fma_f32 v5, -v2, v3, 1.0
	v_fmac_f32_e32 v3, v5, v3
	v_mul_f32_e32 v5, v0, v3
	v_fma_f32 v6, -v2, v5, v0
	v_fmac_f32_e32 v5, v6, v3
	v_rndne_f32_e32 v6, v1
	v_fma_f32 v0, -v2, v5, v0
	v_sub_f32_e32 v1, v1, v6
	v_cvt_i32_f32_e32 v6, v6
	v_div_fmas_f32 v0, v0, v3, v5
	v_mul_f32_e64 v5, 0x4f800000, |v4|
	v_cmp_gt_f32_e64 vcc_lo, 0xf800000, |v4|
	v_add_f32_e32 v1, v1, v8
	v_div_fixup_f32 v0, v0, |v4|, 0x42000000
	v_cndmask_b32_e64 v5, |v4|, v5, vcc_lo
	v_exp_f32_e32 v1, v1
	v_add_f32_e32 v0, -2.0, v0
	v_sqrt_f32_e32 v9, v5
	v_fmaak_f32 v2, s0, v0, 0xa2b236d3
	v_ldexp_f32 v1, v1, v6
	v_fmaak_f32 v3, v0, v2, 0x23056dbb
	v_add_nc_u32_e32 v8, -1, v9
	v_add_nc_u32_e32 v10, 1, v9
	v_add_f32_e32 v3, 0x244df0c1, v3
	v_fma_f32 v11, -v8, v9, v5
	v_fma_f32 v12, -v10, v9, v5
	v_fma_f32 v2, v0, v3, -v2
	v_cmp_ge_f32_e64 s0, 0, v11
	v_add_f32_e32 v2, 0x241f9ee8, v2
	v_cndmask_b32_e64 v8, v9, v8, s0
	v_cmp_lt_f32_e64 s0, 0, v12
	v_fma_f32 v3, v0, v2, -v3
	v_add_f32_e32 v3, 0xa5a3005d, v3
	v_fma_f32 v2, v0, v3, -v2
	v_add_f32_e32 v2, 0xa5c5773f, v2
	v_fma_f32 v3, v0, v2, -v3
	v_add_f32_e32 v3, 0x26ff73ed, v3
	v_fma_f32 v2, v0, v3, -v2
	v_add_f32_e32 v2, 0x2789548d, v2
	v_fma_f32 v3, v0, v2, -v3
	v_add_f32_e32 v3, 0xa82c1ff4, v3
	v_fma_f32 v2, v0, v3, -v2
	v_add_f32_e32 v2, 0xa93aecce, v2
	v_fma_f32 v3, v0, v2, -v3
	v_add_f32_e32 v3, 0x288ab7f8, v3
	v_fma_f32 v2, v0, v3, -v2
	v_add_f32_e32 v2, 0x2ad8e463, v2
	v_fma_f32 v3, v0, v2, -v3
	v_add_f32_e32 v3, 0x2b4a1a40, v3
	v_fma_f32 v2, v0, v3, -v2
	v_add_f32_e32 v2, 0xabfc8218, v2
	v_fma_f32 v3, v0, v2, -v3
	v_add_f32_e32 v3, 0xad687eba, v3
	v_fma_f32 v2, v0, v3, -v2
	v_add_f32_e32 v2, 0xae0a88e8, v2
	v_fma_f32 v3, v0, v2, -v3
	v_add_f32_e32 v3, 0x2d5127f5, v3
	v_fma_f32 v2, v0, v3, -v2
	v_add_f32_e32 v2, 0x3007ce66, v2
	v_fma_f32 v3, v0, v2, -v3
	v_add_f32_e32 v3, 0x31696325, v3
	v_fma_f32 v2, v0, v3, -v2
	v_add_f32_e32 v2, 0x32c2b494, v2
	v_fma_f32 v3, v0, v2, -v3
	v_add_f32_e32 v3, 0x345c003f, v3
	v_fma_f32 v2, v0, v3, -v2
	v_add_f32_e32 v2, 0x3642095e, v2
	v_fma_f32 v3, v0, v2, -v3
	v_add_f32_e32 v3, 0x38907d1c, v3
	v_fma_f32 v2, v0, v3, -v2
	v_add_f32_e32 v2, 0x3b5ccc65, v2
	v_fma_f32 v0, v0, v2, -v3
	v_cndmask_b32_e64 v2, v8, v10, s0
	v_cmp_ngt_f32_e64 s0, 0xc2ce8ed0, |v4|
	v_add_f32_e32 v0, 0x3f4df315, v0
	v_mul_f32_e32 v6, 0x37800000, v2
	v_cndmask_b32_e64 v1, 0, v1, s0
	v_cmp_nlt_f32_e64 s0, 0x42b17218, |v4|
	v_sub_f32_e32 v0, v0, v3
	v_cndmask_b32_e32 v2, v2, v6, vcc_lo
	v_cmp_class_f32_e64 vcc_lo, v5, 0x260
	v_cndmask_b32_e64 v1, 0x7f800000, v1, s0
	v_mul_f32_e32 v0, 0.5, v0
	v_cndmask_b32_e32 v2, v2, v5, vcc_lo
	v_mul_f32_e32 v0, v1, v0
	v_div_scale_f32 v1, null, v2, v2, v0
	v_rcp_f32_e32 v3, v1
	v_fma_f32 v4, -v1, v3, 1.0
	v_fmac_f32_e32 v3, v4, v3
	v_div_scale_f32 v4, vcc_lo, v0, v2, v0
	v_mul_f32_e32 v5, v4, v3
	v_fma_f32 v6, -v1, v5, v4
	v_fmac_f32_e32 v5, v6, v3
	v_fma_f32 v1, -v1, v5, v4
	v_div_fmas_f32 v1, v1, v3, v5
	v_div_fixup_f32 v0, v1, v2, v0
.LBB17_927:
	s_or_b32 exec_lo, exec_lo, s13
	v_mul_lo_u32 v1, v7, s2
	s_and_b32 s13, s1, 0xff
	s_cmp_lt_i32 s13, 11
	v_ashrrev_i32_e32 v3, 31, v1
	v_add_co_u32 v2, vcc_lo, s8, v1
	v_add_co_ci_u32_e64 v3, null, s9, v3, vcc_lo
	s_cbranch_scc1 .LBB17_937
; %bb.928:
	s_and_b32 s15, 0xffff, s13
	s_mov_b32 s16, -1
	s_cmp_gt_i32 s15, 25
	s_mov_b32 s0, s7
	s_cbranch_scc0 .LBB17_965
; %bb.929:
	s_cmp_gt_i32 s15, 28
	s_mov_b32 s0, s7
	s_cbranch_scc0 .LBB17_949
; %bb.930:
	;; [unrolled: 4-line block ×4, first 2 shown]
	s_cmp_eq_u32 s15, 46
	s_mov_b32 s0, -1
	s_cbranch_scc0 .LBB17_938
; %bb.933:
	v_bfe_u32 v1, v0, 16, 1
	v_cmp_o_f32_e32 vcc_lo, v0, v0
	v_mov_b32_e32 v4, 0x7fc0
	s_mov_b32 s0, 0
	s_mov_b32 s16, 0
	v_add3_u32 v1, v0, v1, 0x7fff
	v_cndmask_b32_sdwa v1, v4, v1, vcc_lo dst_sel:DWORD dst_unused:UNUSED_PAD src0_sel:DWORD src1_sel:WORD_1
	global_store_dword v[2:3], v1, off
	s_branch .LBB17_939
.LBB17_934:
	s_or_b32 exec_lo, exec_lo, s14
	s_and_saveexec_b32 s0, s7
	s_cbranch_execnz .LBB17_1007
.LBB17_935:
	s_or_b32 exec_lo, exec_lo, s0
	s_and_saveexec_b32 s0, s16
	s_xor_b32 s0, exec_lo, s0
	s_cbranch_execz .LBB17_1008
.LBB17_936:
	v_cmp_neq_f32_e32 vcc_lo, 0, v0
	v_cndmask_b32_e64 v1, 0, 1, vcc_lo
	s_waitcnt vmcnt(0)
	global_store_byte v[2:3], v1, off
	s_or_b32 exec_lo, exec_lo, s0
	s_and_saveexec_b32 s0, s15
	s_xor_b32 s0, exec_lo, s0
	s_cbranch_execz .LBB17_1046
	s_branch .LBB17_1009
.LBB17_937:
	s_mov_b32 s17, 0
	s_mov_b32 s16, -1
	s_mov_b32 s0, s7
	s_branch .LBB17_1006
.LBB17_938:
	s_mov_b32 s16, 0
.LBB17_939:
	s_and_b32 vcc_lo, exec_lo, s16
	s_cbranch_vccz .LBB17_944
; %bb.940:
	s_cmp_eq_u32 s15, 44
	s_mov_b32 s0, -1
	s_cbranch_scc0 .LBB17_944
; %bb.941:
	v_bfe_u32 v4, v0, 23, 8
	v_mov_b32_e32 v1, 0xff
	s_mov_b32 s16, exec_lo
	v_cmpx_ne_u32_e32 0xff, v4
	s_cbranch_execz .LBB17_943
; %bb.942:
	v_and_b32_e32 v1, 0x400000, v0
	v_and_or_b32 v4, 0x3fffff, v0, v4
	v_cmp_ne_u32_e32 vcc_lo, 0, v1
	v_cmp_ne_u32_e64 s0, 0, v4
	v_lshrrev_b32_e32 v1, 23, v0
	s_and_b32 s0, vcc_lo, s0
	v_cndmask_b32_e64 v4, 0, 1, s0
	v_add_nc_u32_e32 v1, v1, v4
.LBB17_943:
	s_or_b32 exec_lo, exec_lo, s16
	s_mov_b32 s0, 0
	global_store_byte v[2:3], v1, off
.LBB17_944:
	s_mov_b32 s16, 0
.LBB17_945:
	s_and_b32 vcc_lo, exec_lo, s16
	s_cbranch_vccz .LBB17_948
; %bb.946:
	s_cmp_eq_u32 s15, 29
	s_mov_b32 s0, -1
	s_cbranch_scc0 .LBB17_948
; %bb.947:
	v_trunc_f32_e32 v1, v0
	s_mov_b32 s0, 0
	s_mov_b32 s16, 0
	v_mul_f32_e32 v4, 0x2f800000, v1
	v_floor_f32_e32 v4, v4
	v_fmamk_f32 v1, v4, 0xcf800000, v1
	v_cvt_u32_f32_e32 v5, v4
	v_cvt_u32_f32_e32 v4, v1
	global_store_dwordx2 v[2:3], v[4:5], off
	s_branch .LBB17_949
.LBB17_948:
	s_mov_b32 s16, 0
.LBB17_949:
	s_and_b32 vcc_lo, exec_lo, s16
	s_cbranch_vccz .LBB17_964
; %bb.950:
	s_cmp_lt_i32 s15, 27
	s_mov_b32 s16, -1
	s_cbranch_scc1 .LBB17_956
; %bb.951:
	v_cvt_u32_f32_e32 v1, v0
	s_cmp_gt_i32 s15, 27
	s_cbranch_scc0 .LBB17_953
; %bb.952:
	s_mov_b32 s16, 0
	global_store_dword v[2:3], v1, off
.LBB17_953:
	s_andn2_b32 vcc_lo, exec_lo, s16
	s_cbranch_vccnz .LBB17_955
; %bb.954:
	global_store_short v[2:3], v1, off
.LBB17_955:
	s_mov_b32 s16, 0
.LBB17_956:
	s_andn2_b32 vcc_lo, exec_lo, s16
	s_cbranch_vccnz .LBB17_964
; %bb.957:
	v_and_b32_e32 v1, 0x7fffffff, v0
	v_mov_b32_e32 v4, 0x80
	s_mov_b32 s16, exec_lo
	v_cmpx_gt_u32_e32 0x43800000, v1
	s_cbranch_execz .LBB17_963
; %bb.958:
	v_cmp_lt_u32_e32 vcc_lo, 0x3bffffff, v1
	s_mov_b32 s17, 0
                                        ; implicit-def: $vgpr1
	s_and_saveexec_b32 s18, vcc_lo
	s_xor_b32 s18, exec_lo, s18
	s_cbranch_execz .LBB17_1061
; %bb.959:
	v_bfe_u32 v1, v0, 20, 1
	s_mov_b32 s17, exec_lo
	v_add3_u32 v1, v0, v1, 0x487ffff
	v_lshrrev_b32_e32 v1, 20, v1
	s_andn2_saveexec_b32 s18, s18
	s_cbranch_execnz .LBB17_1062
.LBB17_960:
	s_or_b32 exec_lo, exec_lo, s18
	v_mov_b32_e32 v4, 0
	s_and_saveexec_b32 s18, s17
.LBB17_961:
	v_lshrrev_b32_e32 v4, 24, v0
	v_and_or_b32 v4, 0x80, v4, v1
.LBB17_962:
	s_or_b32 exec_lo, exec_lo, s18
.LBB17_963:
	s_or_b32 exec_lo, exec_lo, s16
	global_store_byte v[2:3], v4, off
.LBB17_964:
	s_mov_b32 s16, 0
.LBB17_965:
	s_and_b32 vcc_lo, exec_lo, s16
	s_mov_b32 s16, 0
	s_cbranch_vccz .LBB17_1005
; %bb.966:
	s_cmp_gt_i32 s15, 22
	s_mov_b32 s17, -1
	s_cbranch_scc0 .LBB17_998
; %bb.967:
	s_cmp_lt_i32 s15, 24
	s_cbranch_scc1 .LBB17_987
; %bb.968:
	s_cmp_gt_i32 s15, 24
	s_cbranch_scc0 .LBB17_976
; %bb.969:
	v_and_b32_e32 v1, 0x7fffffff, v0
	v_mov_b32_e32 v4, 0x80
	s_mov_b32 s17, exec_lo
	v_cmpx_gt_u32_e32 0x47800000, v1
	s_cbranch_execz .LBB17_975
; %bb.970:
	v_cmp_lt_u32_e32 vcc_lo, 0x37ffffff, v1
	s_mov_b32 s18, 0
                                        ; implicit-def: $vgpr1
	s_and_saveexec_b32 s19, vcc_lo
	s_xor_b32 s19, exec_lo, s19
	s_cbranch_execz .LBB17_1191
; %bb.971:
	v_bfe_u32 v1, v0, 21, 1
	s_mov_b32 s18, exec_lo
	v_add3_u32 v1, v0, v1, 0x88fffff
	v_lshrrev_b32_e32 v1, 21, v1
	s_andn2_saveexec_b32 s19, s19
	s_cbranch_execnz .LBB17_1192
.LBB17_972:
	s_or_b32 exec_lo, exec_lo, s19
	v_mov_b32_e32 v4, 0
	s_and_saveexec_b32 s19, s18
.LBB17_973:
	v_lshrrev_b32_e32 v4, 24, v0
	v_and_or_b32 v4, 0x80, v4, v1
.LBB17_974:
	s_or_b32 exec_lo, exec_lo, s19
.LBB17_975:
	s_or_b32 exec_lo, exec_lo, s17
	s_mov_b32 s17, 0
	global_store_byte v[2:3], v4, off
.LBB17_976:
	s_and_b32 vcc_lo, exec_lo, s17
	s_cbranch_vccz .LBB17_986
; %bb.977:
	v_and_b32_e32 v4, 0x7fffffff, v0
	s_mov_b32 s17, exec_lo
                                        ; implicit-def: $vgpr1
	v_cmpx_gt_u32_e32 0x43f00000, v4
	s_xor_b32 s17, exec_lo, s17
	s_cbranch_execz .LBB17_983
; %bb.978:
	s_mov_b32 s18, exec_lo
                                        ; implicit-def: $vgpr1
	v_cmpx_lt_u32_e32 0x3c7fffff, v4
	s_xor_b32 s18, exec_lo, s18
; %bb.979:
	v_bfe_u32 v1, v0, 20, 1
	v_add3_u32 v1, v0, v1, 0x407ffff
	v_and_b32_e32 v4, 0xff00000, v1
	v_lshrrev_b32_e32 v1, 20, v1
	v_cmp_ne_u32_e32 vcc_lo, 0x7f00000, v4
	v_cndmask_b32_e32 v1, 0x7e, v1, vcc_lo
; %bb.980:
	s_andn2_saveexec_b32 s18, s18
; %bb.981:
	v_add_f32_e64 v1, 0x46800000, |v0|
; %bb.982:
	s_or_b32 exec_lo, exec_lo, s18
                                        ; implicit-def: $vgpr4
.LBB17_983:
	s_andn2_saveexec_b32 s17, s17
; %bb.984:
	v_mov_b32_e32 v1, 0x7f
	v_cmp_lt_u32_e32 vcc_lo, 0x7f800000, v4
	v_cndmask_b32_e32 v1, 0x7e, v1, vcc_lo
; %bb.985:
	s_or_b32 exec_lo, exec_lo, s17
	v_lshrrev_b32_e32 v4, 24, v0
	v_and_or_b32 v1, 0x80, v4, v1
	global_store_byte v[2:3], v1, off
.LBB17_986:
	s_mov_b32 s17, 0
.LBB17_987:
	s_andn2_b32 vcc_lo, exec_lo, s17
	s_cbranch_vccnz .LBB17_997
; %bb.988:
	v_and_b32_e32 v4, 0x7fffffff, v0
	s_mov_b32 s17, exec_lo
                                        ; implicit-def: $vgpr1
	v_cmpx_gt_u32_e32 0x47800000, v4
	s_xor_b32 s17, exec_lo, s17
	s_cbranch_execz .LBB17_994
; %bb.989:
	s_mov_b32 s18, exec_lo
                                        ; implicit-def: $vgpr1
	v_cmpx_lt_u32_e32 0x387fffff, v4
	s_xor_b32 s18, exec_lo, s18
; %bb.990:
	v_bfe_u32 v1, v0, 21, 1
	v_add3_u32 v1, v0, v1, 0x80fffff
	v_lshrrev_b32_e32 v1, 21, v1
; %bb.991:
	s_andn2_saveexec_b32 s18, s18
; %bb.992:
	v_add_f32_e64 v1, 0x43000000, |v0|
; %bb.993:
	s_or_b32 exec_lo, exec_lo, s18
                                        ; implicit-def: $vgpr4
.LBB17_994:
	s_andn2_saveexec_b32 s17, s17
; %bb.995:
	v_mov_b32_e32 v1, 0x7f
	v_cmp_lt_u32_e32 vcc_lo, 0x7f800000, v4
	v_cndmask_b32_e32 v1, 0x7c, v1, vcc_lo
; %bb.996:
	s_or_b32 exec_lo, exec_lo, s17
	v_lshrrev_b32_e32 v4, 24, v0
	v_and_or_b32 v1, 0x80, v4, v1
	global_store_byte v[2:3], v1, off
.LBB17_997:
	s_mov_b32 s17, 0
.LBB17_998:
	s_andn2_b32 vcc_lo, exec_lo, s17
	s_mov_b32 s17, 0
	s_cbranch_vccnz .LBB17_1006
; %bb.999:
	s_cmp_gt_i32 s15, 14
	s_mov_b32 s17, -1
	s_cbranch_scc0 .LBB17_1003
; %bb.1000:
	s_cmp_eq_u32 s15, 15
	s_mov_b32 s0, -1
	s_cbranch_scc0 .LBB17_1002
; %bb.1001:
	v_bfe_u32 v1, v0, 16, 1
	v_cmp_o_f32_e32 vcc_lo, v0, v0
	v_mov_b32_e32 v4, 0x7fc0
	s_mov_b32 s0, 0
	v_add3_u32 v1, v0, v1, 0x7fff
	v_cndmask_b32_sdwa v1, v4, v1, vcc_lo dst_sel:DWORD dst_unused:UNUSED_PAD src0_sel:DWORD src1_sel:WORD_1
	global_store_short v[2:3], v1, off
.LBB17_1002:
	s_mov_b32 s17, 0
.LBB17_1003:
	s_and_b32 vcc_lo, exec_lo, s17
	s_mov_b32 s17, 0
	s_cbranch_vccz .LBB17_1006
; %bb.1004:
	s_cmp_lg_u32 s15, 11
	s_mov_b32 s17, -1
	s_cselect_b32 s15, -1, 0
	s_andn2_b32 s0, s0, exec_lo
	s_and_b32 s15, s15, exec_lo
	s_or_b32 s0, s0, s15
	s_branch .LBB17_1006
.LBB17_1005:
	s_mov_b32 s17, 0
.LBB17_1006:
	s_andn2_b32 s7, s7, exec_lo
	s_and_b32 s0, s0, exec_lo
	s_and_b32 s15, s16, exec_lo
	;; [unrolled: 1-line block ×3, first 2 shown]
	s_or_b32 s7, s7, s0
	s_or_b32 exec_lo, exec_lo, s14
	s_and_saveexec_b32 s0, s7
	s_cbranch_execz .LBB17_935
.LBB17_1007:
	s_or_b32 s12, s12, exec_lo
	s_andn2_b32 s16, s16, exec_lo
	s_trap 2
	s_or_b32 exec_lo, exec_lo, s0
	s_and_saveexec_b32 s0, s16
	s_xor_b32 s0, exec_lo, s0
	s_cbranch_execnz .LBB17_936
.LBB17_1008:
	s_or_b32 exec_lo, exec_lo, s0
	s_and_saveexec_b32 s0, s15
	s_xor_b32 s0, exec_lo, s0
	s_cbranch_execz .LBB17_1046
.LBB17_1009:
	s_sext_i32_i16 s14, s13
	s_mov_b32 s7, -1
	s_cmp_lt_i32 s14, 5
	s_cbranch_scc1 .LBB17_1030
; %bb.1010:
	s_cmp_lt_i32 s14, 8
	s_cbranch_scc1 .LBB17_1020
; %bb.1011:
	;; [unrolled: 3-line block ×3, first 2 shown]
	s_cmp_gt_i32 s14, 9
	s_cbranch_scc0 .LBB17_1014
; %bb.1013:
	s_waitcnt vmcnt(0)
	v_cvt_f64_f32_e32 v[4:5], v0
	v_mov_b32_e32 v6, 0
	s_mov_b32 s7, 0
	v_mov_b32_e32 v7, v6
	global_store_dwordx4 v[2:3], v[4:7], off
.LBB17_1014:
	s_andn2_b32 vcc_lo, exec_lo, s7
	s_cbranch_vccnz .LBB17_1016
; %bb.1015:
	v_mov_b32_e32 v1, 0
	s_waitcnt vmcnt(0)
	global_store_dwordx2 v[2:3], v[0:1], off
.LBB17_1016:
	s_mov_b32 s7, 0
.LBB17_1017:
	s_andn2_b32 vcc_lo, exec_lo, s7
	s_cbranch_vccnz .LBB17_1019
; %bb.1018:
	v_cvt_f16_f32_e32 v1, v0
	v_and_b32_e32 v1, 0xffff, v1
	s_waitcnt vmcnt(0)
	global_store_dword v[2:3], v1, off
.LBB17_1019:
	s_mov_b32 s7, 0
.LBB17_1020:
	s_andn2_b32 vcc_lo, exec_lo, s7
	s_cbranch_vccnz .LBB17_1029
; %bb.1021:
	s_sext_i32_i16 s14, s13
	s_mov_b32 s7, -1
	s_cmp_lt_i32 s14, 6
	s_cbranch_scc1 .LBB17_1027
; %bb.1022:
	s_cmp_gt_i32 s14, 6
	s_cbranch_scc0 .LBB17_1024
; %bb.1023:
	s_waitcnt vmcnt(0)
	v_cvt_f64_f32_e32 v[4:5], v0
	s_mov_b32 s7, 0
	global_store_dwordx2 v[2:3], v[4:5], off
.LBB17_1024:
	s_andn2_b32 vcc_lo, exec_lo, s7
	s_cbranch_vccnz .LBB17_1026
; %bb.1025:
	s_waitcnt vmcnt(0)
	global_store_dword v[2:3], v0, off
.LBB17_1026:
	s_mov_b32 s7, 0
.LBB17_1027:
	s_andn2_b32 vcc_lo, exec_lo, s7
	s_cbranch_vccnz .LBB17_1029
; %bb.1028:
	v_cvt_f16_f32_e32 v1, v0
	s_waitcnt vmcnt(0)
	global_store_short v[2:3], v1, off
.LBB17_1029:
	s_mov_b32 s7, 0
.LBB17_1030:
	s_andn2_b32 vcc_lo, exec_lo, s7
	s_cbranch_vccnz .LBB17_1046
; %bb.1031:
	s_sext_i32_i16 s14, s13
	s_mov_b32 s7, -1
	s_cmp_lt_i32 s14, 2
	s_cbranch_scc1 .LBB17_1041
; %bb.1032:
	s_cmp_lt_i32 s14, 3
	s_cbranch_scc1 .LBB17_1038
; %bb.1033:
	s_cmp_gt_i32 s14, 3
	s_cbranch_scc0 .LBB17_1035
; %bb.1034:
	v_trunc_f32_e32 v1, v0
	s_mov_b32 s7, 0
	s_waitcnt vmcnt(0)
	v_mul_f32_e64 v4, 0x2f800000, |v1|
	v_floor_f32_e32 v4, v4
	v_fma_f32 v5, 0xcf800000, v4, |v1|
	v_ashrrev_i32_e32 v1, 31, v1
	v_cvt_u32_f32_e32 v4, v4
	v_cvt_u32_f32_e32 v5, v5
	v_xor_b32_e32 v6, v4, v1
	v_xor_b32_e32 v5, v5, v1
	v_sub_co_u32 v4, vcc_lo, v5, v1
	v_sub_co_ci_u32_e64 v5, null, v6, v1, vcc_lo
	global_store_dwordx2 v[2:3], v[4:5], off
.LBB17_1035:
	s_andn2_b32 vcc_lo, exec_lo, s7
	s_cbranch_vccnz .LBB17_1037
; %bb.1036:
	v_cvt_i32_f32_e32 v1, v0
	s_waitcnt vmcnt(0)
	global_store_dword v[2:3], v1, off
.LBB17_1037:
	s_mov_b32 s7, 0
.LBB17_1038:
	s_andn2_b32 vcc_lo, exec_lo, s7
	s_cbranch_vccnz .LBB17_1040
; %bb.1039:
	v_cvt_i32_f32_e32 v1, v0
	s_waitcnt vmcnt(0)
	global_store_short v[2:3], v1, off
.LBB17_1040:
	s_mov_b32 s7, 0
.LBB17_1041:
	s_andn2_b32 vcc_lo, exec_lo, s7
	s_cbranch_vccnz .LBB17_1046
; %bb.1042:
	s_sext_i32_i16 s7, s13
	s_cmp_gt_i32 s7, 0
	s_mov_b32 s7, -1
	s_cbranch_scc0 .LBB17_1044
; %bb.1043:
	v_cvt_i32_f32_e32 v1, v0
	s_mov_b32 s7, 0
	s_waitcnt vmcnt(0)
	global_store_byte v[2:3], v1, off
.LBB17_1044:
	s_andn2_b32 vcc_lo, exec_lo, s7
	s_cbranch_vccnz .LBB17_1046
; %bb.1045:
	v_trunc_f32_e32 v0, v0
	v_mul_f32_e64 v1, 0x2f800000, |v0|
	v_floor_f32_e32 v1, v1
	v_fma_f32 v1, 0xcf800000, v1, |v0|
	v_ashrrev_i32_e32 v0, 31, v0
	v_cvt_u32_f32_e32 v1, v1
	v_xor_b32_e32 v1, v1, v0
	v_sub_nc_u32_e32 v0, v1, v0
	s_waitcnt vmcnt(0)
	global_store_byte v[2:3], v0, off
.LBB17_1046:
	s_or_b32 exec_lo, exec_lo, s0
	s_and_b32 s7, s12, exec_lo
                                        ; implicit-def: $vgpr7
.LBB17_1047:
	s_or_saveexec_b32 s6, s6
	s_mov_b32 s0, 0
                                        ; implicit-def: $sgpr12
                                        ; implicit-def: $vgpr0_vgpr1
                                        ; implicit-def: $vgpr6
	s_xor_b32 exec_lo, exec_lo, s6
	s_cbranch_execz .LBB17_1660
; %bb.1048:
	s_waitcnt vmcnt(0)
	v_mul_lo_u32 v2, s3, v7
	s_and_b32 s5, 0xffff, s5
	s_cmp_lt_i32 s5, 11
	v_ashrrev_i32_e32 v1, 31, v2
	v_add_co_u32 v0, vcc_lo, s10, v2
	v_add_co_ci_u32_e64 v1, null, s11, v1, vcc_lo
	s_cbranch_scc1 .LBB17_1055
; %bb.1049:
	s_cmp_gt_i32 s5, 25
	s_mov_b32 s12, 0
	s_cbranch_scc0 .LBB17_1057
; %bb.1050:
	s_cmp_gt_i32 s5, 28
	s_cbranch_scc0 .LBB17_1058
; %bb.1051:
	s_cmp_gt_i32 s5, 43
	s_cbranch_scc0 .LBB17_1059
; %bb.1052:
	s_cmp_gt_i32 s5, 45
	s_cbranch_scc0 .LBB17_1060
; %bb.1053:
	s_cmp_eq_u32 s5, 46
	s_cbranch_scc0 .LBB17_1063
; %bb.1054:
	global_load_dword v3, v[0:1], off
	s_mov_b32 s13, -1
	s_waitcnt vmcnt(0)
	v_lshlrev_b32_e32 v3, 16, v3
	s_branch .LBB17_1065
.LBB17_1055:
	s_mov_b32 s13, 0
	s_mov_b32 s4, s7
                                        ; implicit-def: $vgpr3
	s_cbranch_execnz .LBB17_1128
.LBB17_1056:
	s_andn2_b32 vcc_lo, exec_lo, s13
	s_cbranch_vccz .LBB17_1173
	s_branch .LBB17_1658
.LBB17_1057:
	s_mov_b32 s13, 0
                                        ; implicit-def: $vgpr3
	s_cbranch_execnz .LBB17_1093
	s_branch .LBB17_1124
.LBB17_1058:
	s_mov_b32 s4, -1
	s_mov_b32 s13, 0
                                        ; implicit-def: $vgpr3
	s_branch .LBB17_1074
.LBB17_1059:
	s_mov_b32 s13, 0
                                        ; implicit-def: $vgpr3
	s_cbranch_execnz .LBB17_1070
	s_branch .LBB17_1073
.LBB17_1060:
	s_mov_b32 s4, -1
	s_branch .LBB17_1064
.LBB17_1061:
	s_andn2_saveexec_b32 s18, s18
	s_cbranch_execz .LBB17_960
.LBB17_1062:
	v_add_f32_e64 v1, 0x46000000, |v0|
	s_andn2_b32 s17, s17, exec_lo
	v_and_b32_e32 v1, 0xff, v1
	v_cmp_ne_u32_e32 vcc_lo, 0, v1
	s_and_b32 s19, vcc_lo, exec_lo
	s_or_b32 s17, s17, s19
	s_or_b32 exec_lo, exec_lo, s18
	v_mov_b32_e32 v4, 0
	s_and_saveexec_b32 s18, s17
	s_cbranch_execnz .LBB17_961
	s_branch .LBB17_962
.LBB17_1063:
	s_mov_b32 s0, -1
.LBB17_1064:
	s_mov_b32 s13, 0
                                        ; implicit-def: $vgpr3
.LBB17_1065:
	s_and_b32 vcc_lo, exec_lo, s4
	s_cbranch_vccz .LBB17_1068
; %bb.1066:
	s_cmp_eq_u32 s5, 44
	s_cbranch_scc0 .LBB17_1069
; %bb.1067:
	global_load_ubyte v3, v[0:1], off
	s_mov_b32 s0, 0
	s_mov_b32 s13, -1
	s_waitcnt vmcnt(0)
	v_lshlrev_b32_e32 v4, 23, v3
	v_cmp_ne_u32_e32 vcc_lo, 0xff, v3
	v_cndmask_b32_e32 v4, 0x7f800001, v4, vcc_lo
	v_cmp_ne_u32_e32 vcc_lo, 0, v3
	v_cndmask_b32_e32 v3, 0x400000, v4, vcc_lo
.LBB17_1068:
	s_branch .LBB17_1073
.LBB17_1069:
	s_mov_b32 s0, -1
                                        ; implicit-def: $vgpr3
	s_branch .LBB17_1073
.LBB17_1070:
	s_cmp_eq_u32 s5, 29
	s_cbranch_scc0 .LBB17_1072
; %bb.1071:
	global_load_dwordx2 v[3:4], v[0:1], off
	s_mov_b32 s0, 0
	s_mov_b32 s13, -1
	s_mov_b32 s4, 0
	s_waitcnt vmcnt(0)
	v_ffbh_u32_e32 v5, v4
	v_min_u32_e32 v5, 32, v5
	v_lshlrev_b64 v[3:4], v5, v[3:4]
	v_min_u32_e32 v3, 1, v3
	v_or_b32_e32 v3, v4, v3
	v_sub_nc_u32_e32 v4, 32, v5
	v_cvt_f32_u32_e32 v3, v3
	v_ldexp_f32 v3, v3, v4
	s_branch .LBB17_1074
.LBB17_1072:
	s_mov_b32 s0, -1
                                        ; implicit-def: $vgpr3
.LBB17_1073:
	s_mov_b32 s4, 0
.LBB17_1074:
	s_and_b32 vcc_lo, exec_lo, s4
	s_cbranch_vccz .LBB17_1092
; %bb.1075:
	s_cmp_lt_i32 s5, 27
	s_cbranch_scc1 .LBB17_1078
; %bb.1076:
	s_cmp_gt_i32 s5, 27
	s_cbranch_scc0 .LBB17_1079
; %bb.1077:
	global_load_dword v3, v[0:1], off
	s_mov_b32 s4, 0
	s_waitcnt vmcnt(0)
	v_cvt_f32_u32_e32 v3, v3
	s_branch .LBB17_1080
.LBB17_1078:
	s_mov_b32 s4, -1
                                        ; implicit-def: $vgpr3
	s_branch .LBB17_1083
.LBB17_1079:
	s_mov_b32 s4, -1
                                        ; implicit-def: $vgpr3
.LBB17_1080:
	s_andn2_b32 vcc_lo, exec_lo, s4
	s_cbranch_vccnz .LBB17_1082
; %bb.1081:
	global_load_ushort v3, v[0:1], off
	s_waitcnt vmcnt(0)
	v_cvt_f32_u32_e32 v3, v3
.LBB17_1082:
	s_mov_b32 s4, 0
.LBB17_1083:
	s_andn2_b32 vcc_lo, exec_lo, s4
	s_cbranch_vccnz .LBB17_1091
; %bb.1084:
	global_load_ubyte v4, v[0:1], off
	s_mov_b32 s4, 0
	s_mov_b32 s13, exec_lo
	s_waitcnt vmcnt(0)
	v_cmpx_lt_i16_e32 0x7f, v4
	s_xor_b32 s13, exec_lo, s13
	s_cbranch_execz .LBB17_1104
; %bb.1085:
	s_mov_b32 s4, -1
	s_mov_b32 s14, exec_lo
	v_cmpx_eq_u16_e32 0x80, v4
; %bb.1086:
	s_xor_b32 s4, exec_lo, -1
; %bb.1087:
	s_or_b32 exec_lo, exec_lo, s14
	s_and_b32 s4, s4, exec_lo
	s_or_saveexec_b32 s13, s13
	v_mov_b32_e32 v3, 0x7f800001
	s_xor_b32 exec_lo, exec_lo, s13
	s_cbranch_execnz .LBB17_1105
.LBB17_1088:
	s_or_b32 exec_lo, exec_lo, s13
	s_and_saveexec_b32 s13, s4
	s_cbranch_execz .LBB17_1090
.LBB17_1089:
	v_and_b32_e32 v3, 0xffff, v4
	v_lshlrev_b32_e32 v4, 24, v4
	v_and_b32_e32 v5, 7, v3
	v_bfe_u32 v9, v3, 3, 4
	v_and_b32_e32 v4, 0x80000000, v4
	v_ffbh_u32_e32 v6, v5
	v_cmp_eq_u32_e32 vcc_lo, 0, v9
	v_min_u32_e32 v6, 32, v6
	v_subrev_nc_u32_e32 v8, 28, v6
	v_sub_nc_u32_e32 v6, 29, v6
	v_lshlrev_b32_e32 v3, v8, v3
	v_cndmask_b32_e32 v6, v9, v6, vcc_lo
	v_and_b32_e32 v3, 7, v3
	v_cndmask_b32_e32 v3, v5, v3, vcc_lo
	v_lshl_add_u32 v5, v6, 23, 0x3b800000
	v_lshlrev_b32_e32 v3, 20, v3
	v_or3_b32 v3, v4, v5, v3
.LBB17_1090:
	s_or_b32 exec_lo, exec_lo, s13
.LBB17_1091:
	s_mov_b32 s13, -1
.LBB17_1092:
	s_branch .LBB17_1124
.LBB17_1093:
	s_cmp_gt_i32 s5, 22
	s_cbranch_scc0 .LBB17_1103
; %bb.1094:
	s_cmp_lt_i32 s5, 24
	s_cbranch_scc1 .LBB17_1106
; %bb.1095:
	s_cmp_gt_i32 s5, 24
	s_cbranch_scc0 .LBB17_1107
; %bb.1096:
	global_load_ubyte v4, v[0:1], off
	s_mov_b32 s4, 0
	s_mov_b32 s12, exec_lo
	s_waitcnt vmcnt(0)
	v_cmpx_lt_i16_e32 0x7f, v4
	s_xor_b32 s12, exec_lo, s12
	s_cbranch_execz .LBB17_1118
; %bb.1097:
	s_mov_b32 s4, -1
	s_mov_b32 s13, exec_lo
	v_cmpx_eq_u16_e32 0x80, v4
; %bb.1098:
	s_xor_b32 s4, exec_lo, -1
; %bb.1099:
	s_or_b32 exec_lo, exec_lo, s13
	s_and_b32 s4, s4, exec_lo
	s_or_saveexec_b32 s12, s12
	v_mov_b32_e32 v3, 0x7f800001
	s_xor_b32 exec_lo, exec_lo, s12
	s_cbranch_execnz .LBB17_1119
.LBB17_1100:
	s_or_b32 exec_lo, exec_lo, s12
	s_and_saveexec_b32 s12, s4
	s_cbranch_execz .LBB17_1102
.LBB17_1101:
	v_and_b32_e32 v3, 0xffff, v4
	v_lshlrev_b32_e32 v4, 24, v4
	v_and_b32_e32 v5, 3, v3
	v_bfe_u32 v9, v3, 2, 5
	v_and_b32_e32 v4, 0x80000000, v4
	v_ffbh_u32_e32 v6, v5
	v_cmp_eq_u32_e32 vcc_lo, 0, v9
	v_min_u32_e32 v6, 32, v6
	v_subrev_nc_u32_e32 v8, 29, v6
	v_sub_nc_u32_e32 v6, 30, v6
	v_lshlrev_b32_e32 v3, v8, v3
	v_cndmask_b32_e32 v6, v9, v6, vcc_lo
	v_and_b32_e32 v3, 3, v3
	v_cndmask_b32_e32 v3, v5, v3, vcc_lo
	v_lshl_add_u32 v5, v6, 23, 0x37800000
	v_lshlrev_b32_e32 v3, 21, v3
	v_or3_b32 v3, v4, v5, v3
.LBB17_1102:
	s_or_b32 exec_lo, exec_lo, s12
	s_mov_b32 s4, 0
	s_branch .LBB17_1108
.LBB17_1103:
                                        ; implicit-def: $vgpr3
	s_mov_b32 s12, 0
	s_branch .LBB17_1114
.LBB17_1104:
	s_or_saveexec_b32 s13, s13
	v_mov_b32_e32 v3, 0x7f800001
	s_xor_b32 exec_lo, exec_lo, s13
	s_cbranch_execz .LBB17_1088
.LBB17_1105:
	v_cmp_ne_u16_e32 vcc_lo, 0, v4
	v_mov_b32_e32 v3, 0
	s_andn2_b32 s4, s4, exec_lo
	s_and_b32 s14, vcc_lo, exec_lo
	s_or_b32 s4, s4, s14
	s_or_b32 exec_lo, exec_lo, s13
	s_and_saveexec_b32 s13, s4
	s_cbranch_execnz .LBB17_1089
	s_branch .LBB17_1090
.LBB17_1106:
	s_mov_b32 s4, -1
                                        ; implicit-def: $vgpr3
	s_branch .LBB17_1111
.LBB17_1107:
	s_mov_b32 s4, -1
                                        ; implicit-def: $vgpr3
.LBB17_1108:
	s_and_b32 vcc_lo, exec_lo, s4
	s_cbranch_vccz .LBB17_1110
; %bb.1109:
	global_load_ubyte v3, v[0:1], off
	s_waitcnt vmcnt(0)
	v_lshlrev_b32_e32 v3, 24, v3
	v_and_b32_e32 v4, 0x7f000000, v3
	v_ffbh_u32_e32 v5, v4
	v_add_nc_u32_e32 v8, 0x1000000, v4
	v_cmp_ne_u32_e32 vcc_lo, 0, v4
	v_min_u32_e32 v5, 32, v5
	v_sub_nc_u32_e64 v5, v5, 4 clamp
	v_lshlrev_b32_e32 v6, v5, v4
	v_lshlrev_b32_e32 v5, 23, v5
	v_lshrrev_b32_e32 v6, 4, v6
	v_sub_nc_u32_e32 v5, v6, v5
	v_ashrrev_i32_e32 v6, 8, v8
	v_add_nc_u32_e32 v5, 0x3c000000, v5
	v_and_or_b32 v5, 0x7f800000, v6, v5
	v_cndmask_b32_e32 v4, 0, v5, vcc_lo
	v_and_or_b32 v3, 0x80000000, v3, v4
.LBB17_1110:
	s_mov_b32 s4, 0
.LBB17_1111:
	s_andn2_b32 vcc_lo, exec_lo, s4
	s_cbranch_vccnz .LBB17_1113
; %bb.1112:
	global_load_ubyte v3, v[0:1], off
	s_waitcnt vmcnt(0)
	v_lshlrev_b32_e32 v4, 25, v3
	v_lshlrev_b16 v3, 8, v3
	v_lshrrev_b32_e32 v5, 4, v4
	v_and_or_b32 v6, 0x7f00, v3, 0.5
	v_cmp_gt_u32_e32 vcc_lo, 0x8000000, v4
	v_bfe_i32 v3, v3, 0, 16
	v_or_b32_e32 v5, 0x70000000, v5
	v_add_f32_e32 v6, -0.5, v6
	v_mul_f32_e32 v5, 0x7800000, v5
	v_cndmask_b32_e32 v4, v5, v6, vcc_lo
	v_and_or_b32 v3, 0x80000000, v3, v4
.LBB17_1113:
	s_mov_b32 s13, -1
	s_mov_b32 s12, 0
	s_cbranch_execnz .LBB17_1124
.LBB17_1114:
	s_cmp_gt_i32 s5, 14
	s_cbranch_scc0 .LBB17_1117
; %bb.1115:
	s_cmp_eq_u32 s5, 15
	s_cbranch_scc0 .LBB17_1120
; %bb.1116:
	global_load_ushort v3, v[0:1], off
	s_mov_b32 s0, 0
	s_mov_b32 s13, -1
	s_waitcnt vmcnt(0)
	v_lshlrev_b32_e32 v3, 16, v3
	s_branch .LBB17_1121
.LBB17_1117:
	s_mov_b32 s4, -1
                                        ; implicit-def: $vgpr3
	s_branch .LBB17_1122
.LBB17_1118:
	s_or_saveexec_b32 s12, s12
	v_mov_b32_e32 v3, 0x7f800001
	s_xor_b32 exec_lo, exec_lo, s12
	s_cbranch_execz .LBB17_1100
.LBB17_1119:
	v_cmp_ne_u16_e32 vcc_lo, 0, v4
	v_mov_b32_e32 v3, 0
	s_andn2_b32 s4, s4, exec_lo
	s_and_b32 s13, vcc_lo, exec_lo
	s_or_b32 s4, s4, s13
	s_or_b32 exec_lo, exec_lo, s12
	s_and_saveexec_b32 s12, s4
	s_cbranch_execnz .LBB17_1101
	s_branch .LBB17_1102
.LBB17_1120:
	s_mov_b32 s0, -1
                                        ; implicit-def: $vgpr3
.LBB17_1121:
	s_mov_b32 s4, 0
.LBB17_1122:
	s_and_b32 vcc_lo, exec_lo, s4
	s_cbranch_vccz .LBB17_1124
; %bb.1123:
	s_cmp_lg_u32 s5, 11
	s_mov_b32 s12, -1
	s_cselect_b32 s0, -1, 0
.LBB17_1124:
	s_and_b32 vcc_lo, exec_lo, s0
	s_mov_b32 s4, s7
	s_cbranch_vccnz .LBB17_1189
; %bb.1125:
	s_andn2_b32 vcc_lo, exec_lo, s12
	s_cbranch_vccnz .LBB17_1127
.LBB17_1126:
	global_load_ubyte v3, v[0:1], off
	s_mov_b32 s13, -1
	s_waitcnt vmcnt(0)
	v_cmp_ne_u16_e32 vcc_lo, 0, v3
	v_cndmask_b32_e64 v3, 0, 1.0, vcc_lo
.LBB17_1127:
	s_branch .LBB17_1056
.LBB17_1128:
	s_cmp_lt_i32 s5, 5
	s_cbranch_scc1 .LBB17_1133
; %bb.1129:
	s_cmp_lt_i32 s5, 8
	s_cbranch_scc1 .LBB17_1134
; %bb.1130:
	;; [unrolled: 3-line block ×3, first 2 shown]
	s_cmp_gt_i32 s5, 9
	s_cbranch_scc0 .LBB17_1136
; %bb.1132:
	global_load_dwordx2 v[3:4], v[0:1], off
	s_mov_b32 s0, 0
	s_waitcnt vmcnt(0)
	v_cvt_f32_f64_e32 v3, v[3:4]
	s_branch .LBB17_1137
.LBB17_1133:
                                        ; implicit-def: $vgpr3
	s_branch .LBB17_1154
.LBB17_1134:
                                        ; implicit-def: $vgpr3
	s_branch .LBB17_1143
.LBB17_1135:
	s_mov_b32 s0, -1
                                        ; implicit-def: $vgpr3
	s_branch .LBB17_1140
.LBB17_1136:
	s_mov_b32 s0, -1
                                        ; implicit-def: $vgpr3
.LBB17_1137:
	s_andn2_b32 vcc_lo, exec_lo, s0
	s_cbranch_vccnz .LBB17_1139
; %bb.1138:
	global_load_dword v3, v[0:1], off
.LBB17_1139:
	s_mov_b32 s0, 0
.LBB17_1140:
	s_andn2_b32 vcc_lo, exec_lo, s0
	s_cbranch_vccnz .LBB17_1142
; %bb.1141:
	global_load_dword v3, v[0:1], off
	s_waitcnt vmcnt(0)
	v_cvt_f32_f16_e32 v3, v3
.LBB17_1142:
	s_cbranch_execnz .LBB17_1153
.LBB17_1143:
	s_cmp_lt_i32 s5, 6
	s_cbranch_scc1 .LBB17_1146
; %bb.1144:
	s_cmp_gt_i32 s5, 6
	s_cbranch_scc0 .LBB17_1147
; %bb.1145:
	global_load_dwordx2 v[3:4], v[0:1], off
	s_mov_b32 s0, 0
	s_waitcnt vmcnt(0)
	v_cvt_f32_f64_e32 v3, v[3:4]
	s_branch .LBB17_1148
.LBB17_1146:
	s_mov_b32 s0, -1
                                        ; implicit-def: $vgpr3
	s_branch .LBB17_1151
.LBB17_1147:
	s_mov_b32 s0, -1
                                        ; implicit-def: $vgpr3
.LBB17_1148:
	s_andn2_b32 vcc_lo, exec_lo, s0
	s_cbranch_vccnz .LBB17_1150
; %bb.1149:
	global_load_dword v3, v[0:1], off
.LBB17_1150:
	s_mov_b32 s0, 0
.LBB17_1151:
	s_andn2_b32 vcc_lo, exec_lo, s0
	s_cbranch_vccnz .LBB17_1153
; %bb.1152:
	global_load_ushort v3, v[0:1], off
	s_waitcnt vmcnt(0)
	v_cvt_f32_f16_e32 v3, v3
.LBB17_1153:
	s_cbranch_execnz .LBB17_1172
.LBB17_1154:
	s_cmp_lt_i32 s5, 2
	s_cbranch_scc1 .LBB17_1158
; %bb.1155:
	s_cmp_lt_i32 s5, 3
	s_cbranch_scc1 .LBB17_1159
; %bb.1156:
	s_cmp_gt_i32 s5, 3
	s_cbranch_scc0 .LBB17_1160
; %bb.1157:
	global_load_dwordx2 v[3:4], v[0:1], off
	s_mov_b32 s0, 0
	s_waitcnt vmcnt(0)
	v_xor_b32_e32 v5, v3, v4
	v_ffbh_i32_e32 v6, v4
	v_ashrrev_i32_e32 v5, 31, v5
	v_add_nc_u32_e32 v6, -1, v6
	v_add_nc_u32_e32 v5, 32, v5
	v_min_u32_e32 v5, v6, v5
	v_lshlrev_b64 v[3:4], v5, v[3:4]
	v_min_u32_e32 v3, 1, v3
	v_or_b32_e32 v3, v4, v3
	v_sub_nc_u32_e32 v4, 32, v5
	v_cvt_f32_i32_e32 v3, v3
	v_ldexp_f32 v3, v3, v4
	s_branch .LBB17_1161
.LBB17_1158:
                                        ; implicit-def: $vgpr3
	s_branch .LBB17_1167
.LBB17_1159:
	s_mov_b32 s0, -1
                                        ; implicit-def: $vgpr3
	s_branch .LBB17_1164
.LBB17_1160:
	s_mov_b32 s0, -1
                                        ; implicit-def: $vgpr3
.LBB17_1161:
	s_andn2_b32 vcc_lo, exec_lo, s0
	s_cbranch_vccnz .LBB17_1163
; %bb.1162:
	global_load_dword v3, v[0:1], off
	s_waitcnt vmcnt(0)
	v_cvt_f32_i32_e32 v3, v3
.LBB17_1163:
	s_mov_b32 s0, 0
.LBB17_1164:
	s_andn2_b32 vcc_lo, exec_lo, s0
	s_cbranch_vccnz .LBB17_1166
; %bb.1165:
	global_load_sshort v3, v[0:1], off
	s_waitcnt vmcnt(0)
	v_cvt_f32_i32_e32 v3, v3
.LBB17_1166:
	s_cbranch_execnz .LBB17_1172
.LBB17_1167:
	s_cmp_gt_i32 s5, 0
	s_mov_b32 s0, 0
	s_cbranch_scc0 .LBB17_1169
; %bb.1168:
	global_load_sbyte v3, v[0:1], off
	s_waitcnt vmcnt(0)
	v_cvt_f32_i32_e32 v3, v3
	s_branch .LBB17_1170
.LBB17_1169:
	s_mov_b32 s0, -1
                                        ; implicit-def: $vgpr3
.LBB17_1170:
	s_andn2_b32 vcc_lo, exec_lo, s0
	s_cbranch_vccnz .LBB17_1172
; %bb.1171:
	global_load_ubyte v0, v[0:1], off
	s_waitcnt vmcnt(0)
	v_cvt_f32_ubyte0_e32 v3, v0
.LBB17_1172:
.LBB17_1173:
	s_waitcnt vmcnt(0)
	v_cmp_ge_f32_e64 s0, 0x41000000, |v3|
	v_mul_f32_e64 v1, 0x3fb8aa3b, |v3|
                                        ; implicit-def: $vgpr0
	s_and_saveexec_b32 s12, s0
	s_xor_b32 s0, exec_lo, s12
	s_cbranch_execz .LBB17_1175
; %bb.1174:
	v_fma_f32 v0, |v3|, 0.5, -2.0
	s_mov_b32 s12, 0xa2a2e5b9
	v_rndne_f32_e32 v6, v1
	v_fma_f32 v8, 0x3fb8aa3b, |v3|, -v1
	v_cmp_ngt_f32_e64 vcc_lo, 0xc2ce8ed0, |v3|
	v_fmaak_f32 v4, s12, v0, 0x24199b15
	v_sub_f32_e32 v1, v1, v6
	v_fma_f32 v8, 0x32a5705f, |v3|, v8
	v_cvt_i32_f32_e32 v6, v6
	v_fmaak_f32 v5, v0, v4, 0x22a2e5b9
	v_add_f32_e32 v1, v1, v8
	v_add_f32_e32 v5, 0xa58c275c, v5
	v_exp_f32_e32 v1, v1
	v_fma_f32 v4, v0, v5, -v4
	v_add_f32_e32 v4, 0x26f736c5, v4
	v_ldexp_f32 v1, v1, v6
	v_fma_f32 v5, v0, v4, -v5
	v_cndmask_b32_e32 v1, 0, v1, vcc_lo
	v_cmp_nlt_f32_e64 vcc_lo, 0x42b17218, |v3|
	v_add_f32_e32 v5, 0xa8528116, v5
                                        ; implicit-def: $vgpr3
	v_cndmask_b32_e32 v1, 0x7f800000, v1, vcc_lo
	v_fma_f32 v4, v0, v5, -v4
	v_add_f32_e32 v4, 0x29acda32, v4
	v_fma_f32 v5, v0, v4, -v5
	v_add_f32_e32 v5, 0xab08b263, v5
	;; [unrolled: 2-line block ×25, first 2 shown]
	v_sub_f32_e32 v0, v0, v4
	v_mul_f32_e32 v0, 0.5, v0
	v_mul_f32_e32 v0, v1, v0
                                        ; implicit-def: $vgpr1
.LBB17_1175:
	s_andn2_saveexec_b32 s12, s0
	s_cbranch_execz .LBB17_1177
; %bb.1176:
	v_and_b32_e32 v0, 0x7fffffff, v3
	s_mov_b32 s0, 0xa3056dbb
	v_fma_f32 v9, 0x3fb8aa3b, |v3|, -v1
	v_div_scale_f32 v4, null, v0, v0, 0x42000000
	v_div_scale_f32 v0, vcc_lo, 0x42000000, v0, 0x42000000
	v_fma_f32 v9, 0x32a5705f, |v3|, v9
	v_rcp_f32_e32 v5, v4
	v_fma_f32 v6, -v4, v5, 1.0
	v_fmac_f32_e32 v5, v6, v5
	v_mul_f32_e32 v6, v0, v5
	v_fma_f32 v8, -v4, v6, v0
	v_fmac_f32_e32 v6, v8, v5
	v_rndne_f32_e32 v8, v1
	v_fma_f32 v0, -v4, v6, v0
	v_sub_f32_e32 v1, v1, v8
	v_cvt_i32_f32_e32 v8, v8
	v_div_fmas_f32 v0, v0, v5, v6
	v_mul_f32_e64 v6, 0x4f800000, |v3|
	v_cmp_gt_f32_e64 vcc_lo, 0xf800000, |v3|
	v_add_f32_e32 v1, v1, v9
	v_div_fixup_f32 v0, v0, |v3|, 0x42000000
	v_cndmask_b32_e64 v6, |v3|, v6, vcc_lo
	v_exp_f32_e32 v1, v1
	v_add_f32_e32 v0, -2.0, v0
	v_sqrt_f32_e32 v10, v6
	v_fmaak_f32 v4, s0, v0, 0xa2b236d3
	v_ldexp_f32 v1, v1, v8
	v_fmaak_f32 v5, v0, v4, 0x23056dbb
	v_add_nc_u32_e32 v9, -1, v10
	v_add_nc_u32_e32 v11, 1, v10
	v_add_f32_e32 v5, 0x244df0c1, v5
	v_fma_f32 v12, -v9, v10, v6
	v_fma_f32 v13, -v11, v10, v6
	v_fma_f32 v4, v0, v5, -v4
	v_cmp_ge_f32_e64 s0, 0, v12
	v_add_f32_e32 v4, 0x241f9ee8, v4
	v_cndmask_b32_e64 v9, v10, v9, s0
	v_cmp_lt_f32_e64 s0, 0, v13
	v_fma_f32 v5, v0, v4, -v5
	v_add_f32_e32 v5, 0xa5a3005d, v5
	v_fma_f32 v4, v0, v5, -v4
	v_add_f32_e32 v4, 0xa5c5773f, v4
	;; [unrolled: 2-line block ×20, first 2 shown]
	v_fma_f32 v0, v0, v4, -v5
	v_cndmask_b32_e64 v4, v9, v11, s0
	v_cmp_ngt_f32_e64 s0, 0xc2ce8ed0, |v3|
	v_add_f32_e32 v0, 0x3f4df315, v0
	v_mul_f32_e32 v8, 0x37800000, v4
	v_cndmask_b32_e64 v1, 0, v1, s0
	v_cmp_nlt_f32_e64 s0, 0x42b17218, |v3|
	v_sub_f32_e32 v0, v0, v5
	v_cndmask_b32_e32 v3, v4, v8, vcc_lo
	v_cmp_class_f32_e64 vcc_lo, v6, 0x260
	v_cndmask_b32_e64 v1, 0x7f800000, v1, s0
	v_mul_f32_e32 v0, 0.5, v0
	v_cndmask_b32_e32 v3, v3, v6, vcc_lo
	v_mul_f32_e32 v0, v1, v0
	v_div_scale_f32 v1, null, v3, v3, v0
	v_rcp_f32_e32 v4, v1
	v_fma_f32 v5, -v1, v4, 1.0
	v_fmac_f32_e32 v4, v5, v4
	v_div_scale_f32 v5, vcc_lo, v0, v3, v0
	v_mul_f32_e32 v6, v5, v4
	v_fma_f32 v8, -v1, v6, v5
	v_fmac_f32_e32 v6, v8, v4
	v_fma_f32 v1, -v1, v6, v5
	v_div_fmas_f32 v1, v1, v4, v6
	v_div_fixup_f32 v0, v1, v3, v0
.LBB17_1177:
	s_or_b32 exec_lo, exec_lo, s12
	s_lshl_b32 s3, s3, 7
	s_cmp_lt_i32 s5, 11
	v_add_nc_u32_e32 v3, s3, v2
	v_ashrrev_i32_e32 v2, 31, v3
	v_add_co_u32 v1, vcc_lo, s10, v3
	v_add_co_ci_u32_e64 v2, null, s11, v2, vcc_lo
	s_cbranch_scc1 .LBB17_1184
; %bb.1178:
	s_cmp_gt_i32 s5, 25
	s_mov_b32 s12, 0
	s_cbranch_scc0 .LBB17_1186
; %bb.1179:
	s_cmp_gt_i32 s5, 28
	s_cbranch_scc0 .LBB17_1187
; %bb.1180:
	s_cmp_gt_i32 s5, 43
	;; [unrolled: 3-line block ×3, first 2 shown]
	s_cbranch_scc0 .LBB17_1190
; %bb.1182:
	s_cmp_eq_u32 s5, 46
	s_mov_b32 s14, 0
	s_cbranch_scc0 .LBB17_1193
; %bb.1183:
	global_load_dword v4, v[1:2], off
	s_mov_b32 s0, 0
	s_mov_b32 s13, -1
	s_waitcnt vmcnt(0)
	v_lshlrev_b32_e32 v4, 16, v4
	s_branch .LBB17_1195
.LBB17_1184:
	s_mov_b32 s13, 0
                                        ; implicit-def: $vgpr4
	s_cbranch_execnz .LBB17_1260
.LBB17_1185:
	s_andn2_b32 vcc_lo, exec_lo, s13
	s_cbranch_vccnz .LBB17_1658
	s_branch .LBB17_1307
.LBB17_1186:
	s_mov_b32 s13, 0
	s_mov_b32 s0, 0
                                        ; implicit-def: $vgpr4
	s_cbranch_execnz .LBB17_1224
	s_branch .LBB17_1256
.LBB17_1187:
	s_mov_b32 s14, -1
	s_mov_b32 s13, 0
	s_mov_b32 s0, 0
                                        ; implicit-def: $vgpr4
	s_branch .LBB17_1205
.LBB17_1188:
	s_mov_b32 s14, -1
	s_mov_b32 s13, 0
	s_mov_b32 s0, 0
                                        ; implicit-def: $vgpr4
	s_branch .LBB17_1200
.LBB17_1189:
	s_or_b32 s4, s7, exec_lo
	s_trap 2
	s_cbranch_execz .LBB17_1126
	s_branch .LBB17_1127
.LBB17_1190:
	s_mov_b32 s14, -1
	s_mov_b32 s13, 0
	s_mov_b32 s0, 0
	s_branch .LBB17_1194
.LBB17_1191:
	s_andn2_saveexec_b32 s19, s19
	s_cbranch_execz .LBB17_972
.LBB17_1192:
	v_add_f32_e64 v1, 0x42800000, |v0|
	s_andn2_b32 s18, s18, exec_lo
	v_and_b32_e32 v1, 0xff, v1
	v_cmp_ne_u32_e32 vcc_lo, 0, v1
	s_and_b32 s20, vcc_lo, exec_lo
	s_or_b32 s18, s18, s20
	s_or_b32 exec_lo, exec_lo, s19
	v_mov_b32_e32 v4, 0
	s_and_saveexec_b32 s19, s18
	s_cbranch_execnz .LBB17_973
	s_branch .LBB17_974
.LBB17_1193:
	s_mov_b32 s0, -1
	s_mov_b32 s13, 0
.LBB17_1194:
                                        ; implicit-def: $vgpr4
.LBB17_1195:
	s_and_b32 vcc_lo, exec_lo, s14
	s_cbranch_vccz .LBB17_1199
; %bb.1196:
	s_cmp_eq_u32 s5, 44
	s_cbranch_scc0 .LBB17_1198
; %bb.1197:
	global_load_ubyte v4, v[1:2], off
	s_mov_b32 s0, 0
	s_mov_b32 s13, -1
	s_waitcnt vmcnt(0)
	v_lshlrev_b32_e32 v5, 23, v4
	v_cmp_ne_u32_e32 vcc_lo, 0xff, v4
	v_cndmask_b32_e32 v5, 0x7f800001, v5, vcc_lo
	v_cmp_ne_u32_e32 vcc_lo, 0, v4
	v_cndmask_b32_e32 v4, 0x400000, v5, vcc_lo
	s_branch .LBB17_1199
.LBB17_1198:
	s_mov_b32 s0, -1
                                        ; implicit-def: $vgpr4
.LBB17_1199:
	s_mov_b32 s14, 0
.LBB17_1200:
	s_and_b32 vcc_lo, exec_lo, s14
	s_cbranch_vccz .LBB17_1204
; %bb.1201:
	s_cmp_eq_u32 s5, 29
	s_cbranch_scc0 .LBB17_1203
; %bb.1202:
	global_load_dwordx2 v[4:5], v[1:2], off
	s_mov_b32 s0, 0
	s_mov_b32 s13, -1
	s_mov_b32 s14, 0
	s_waitcnt vmcnt(0)
	v_ffbh_u32_e32 v6, v5
	v_min_u32_e32 v6, 32, v6
	v_lshlrev_b64 v[4:5], v6, v[4:5]
	v_min_u32_e32 v4, 1, v4
	v_or_b32_e32 v4, v5, v4
	v_sub_nc_u32_e32 v5, 32, v6
	v_cvt_f32_u32_e32 v4, v4
	v_ldexp_f32 v4, v4, v5
	s_branch .LBB17_1205
.LBB17_1203:
	s_mov_b32 s0, -1
                                        ; implicit-def: $vgpr4
.LBB17_1204:
	s_mov_b32 s14, 0
.LBB17_1205:
	s_and_b32 vcc_lo, exec_lo, s14
	s_cbranch_vccz .LBB17_1223
; %bb.1206:
	s_cmp_lt_i32 s5, 27
	s_cbranch_scc1 .LBB17_1209
; %bb.1207:
	s_cmp_gt_i32 s5, 27
	s_cbranch_scc0 .LBB17_1210
; %bb.1208:
	global_load_dword v4, v[1:2], off
	s_mov_b32 s13, 0
	s_waitcnt vmcnt(0)
	v_cvt_f32_u32_e32 v4, v4
	s_branch .LBB17_1211
.LBB17_1209:
	s_mov_b32 s13, -1
                                        ; implicit-def: $vgpr4
	s_branch .LBB17_1214
.LBB17_1210:
	s_mov_b32 s13, -1
                                        ; implicit-def: $vgpr4
.LBB17_1211:
	s_andn2_b32 vcc_lo, exec_lo, s13
	s_cbranch_vccnz .LBB17_1213
; %bb.1212:
	global_load_ushort v4, v[1:2], off
	s_waitcnt vmcnt(0)
	v_cvt_f32_u32_e32 v4, v4
.LBB17_1213:
	s_mov_b32 s13, 0
.LBB17_1214:
	s_andn2_b32 vcc_lo, exec_lo, s13
	s_cbranch_vccnz .LBB17_1222
; %bb.1215:
	global_load_ubyte v5, v[1:2], off
	s_mov_b32 s13, 0
	s_mov_b32 s14, exec_lo
	s_waitcnt vmcnt(0)
	v_cmpx_lt_i16_e32 0x7f, v5
	s_xor_b32 s14, exec_lo, s14
	s_cbranch_execz .LBB17_1235
; %bb.1216:
	s_mov_b32 s13, -1
	s_mov_b32 s15, exec_lo
	v_cmpx_eq_u16_e32 0x80, v5
; %bb.1217:
	s_xor_b32 s13, exec_lo, -1
; %bb.1218:
	s_or_b32 exec_lo, exec_lo, s15
	s_and_b32 s13, s13, exec_lo
	s_or_saveexec_b32 s14, s14
	v_mov_b32_e32 v4, 0x7f800001
	s_xor_b32 exec_lo, exec_lo, s14
	s_cbranch_execnz .LBB17_1236
.LBB17_1219:
	s_or_b32 exec_lo, exec_lo, s14
	s_and_saveexec_b32 s14, s13
	s_cbranch_execz .LBB17_1221
.LBB17_1220:
	v_and_b32_e32 v4, 0xffff, v5
	v_lshlrev_b32_e32 v5, 24, v5
	v_and_b32_e32 v6, 7, v4
	v_bfe_u32 v10, v4, 3, 4
	v_and_b32_e32 v5, 0x80000000, v5
	v_ffbh_u32_e32 v8, v6
	v_cmp_eq_u32_e32 vcc_lo, 0, v10
	v_min_u32_e32 v8, 32, v8
	v_subrev_nc_u32_e32 v9, 28, v8
	v_sub_nc_u32_e32 v8, 29, v8
	v_lshlrev_b32_e32 v4, v9, v4
	v_cndmask_b32_e32 v8, v10, v8, vcc_lo
	v_and_b32_e32 v4, 7, v4
	v_cndmask_b32_e32 v4, v6, v4, vcc_lo
	v_lshl_add_u32 v6, v8, 23, 0x3b800000
	v_lshlrev_b32_e32 v4, 20, v4
	v_or3_b32 v4, v5, v6, v4
.LBB17_1221:
	s_or_b32 exec_lo, exec_lo, s14
.LBB17_1222:
	s_mov_b32 s13, -1
.LBB17_1223:
	s_branch .LBB17_1256
.LBB17_1224:
	s_cmp_gt_i32 s5, 22
	s_cbranch_scc0 .LBB17_1234
; %bb.1225:
	s_cmp_lt_i32 s5, 24
	s_cbranch_scc1 .LBB17_1237
; %bb.1226:
	s_cmp_gt_i32 s5, 24
	s_cbranch_scc0 .LBB17_1238
; %bb.1227:
	global_load_ubyte v5, v[1:2], off
	s_mov_b32 s13, exec_lo
	s_waitcnt vmcnt(0)
	v_cmpx_lt_i16_e32 0x7f, v5
	s_xor_b32 s13, exec_lo, s13
	s_cbranch_execz .LBB17_1250
; %bb.1228:
	s_mov_b32 s12, -1
	s_mov_b32 s14, exec_lo
	v_cmpx_eq_u16_e32 0x80, v5
; %bb.1229:
	s_xor_b32 s12, exec_lo, -1
; %bb.1230:
	s_or_b32 exec_lo, exec_lo, s14
	s_and_b32 s12, s12, exec_lo
	s_or_saveexec_b32 s13, s13
	v_mov_b32_e32 v4, 0x7f800001
	s_xor_b32 exec_lo, exec_lo, s13
	s_cbranch_execnz .LBB17_1251
.LBB17_1231:
	s_or_b32 exec_lo, exec_lo, s13
	s_and_saveexec_b32 s13, s12
	s_cbranch_execz .LBB17_1233
.LBB17_1232:
	v_and_b32_e32 v4, 0xffff, v5
	v_lshlrev_b32_e32 v5, 24, v5
	v_and_b32_e32 v6, 3, v4
	v_bfe_u32 v10, v4, 2, 5
	v_and_b32_e32 v5, 0x80000000, v5
	v_ffbh_u32_e32 v8, v6
	v_cmp_eq_u32_e32 vcc_lo, 0, v10
	v_min_u32_e32 v8, 32, v8
	v_subrev_nc_u32_e32 v9, 29, v8
	v_sub_nc_u32_e32 v8, 30, v8
	v_lshlrev_b32_e32 v4, v9, v4
	v_cndmask_b32_e32 v8, v10, v8, vcc_lo
	v_and_b32_e32 v4, 3, v4
	v_cndmask_b32_e32 v4, v6, v4, vcc_lo
	v_lshl_add_u32 v6, v8, 23, 0x37800000
	v_lshlrev_b32_e32 v4, 21, v4
	v_or3_b32 v4, v5, v6, v4
.LBB17_1233:
	s_or_b32 exec_lo, exec_lo, s13
	s_mov_b32 s12, 0
	s_branch .LBB17_1239
.LBB17_1234:
	s_mov_b32 s12, -1
                                        ; implicit-def: $vgpr4
	s_branch .LBB17_1245
.LBB17_1235:
	s_or_saveexec_b32 s14, s14
	v_mov_b32_e32 v4, 0x7f800001
	s_xor_b32 exec_lo, exec_lo, s14
	s_cbranch_execz .LBB17_1219
.LBB17_1236:
	v_cmp_ne_u16_e32 vcc_lo, 0, v5
	v_mov_b32_e32 v4, 0
	s_andn2_b32 s13, s13, exec_lo
	s_and_b32 s15, vcc_lo, exec_lo
	s_or_b32 s13, s13, s15
	s_or_b32 exec_lo, exec_lo, s14
	s_and_saveexec_b32 s14, s13
	s_cbranch_execnz .LBB17_1220
	s_branch .LBB17_1221
.LBB17_1237:
	s_mov_b32 s12, -1
                                        ; implicit-def: $vgpr4
	s_branch .LBB17_1242
.LBB17_1238:
	s_mov_b32 s12, -1
                                        ; implicit-def: $vgpr4
.LBB17_1239:
	s_and_b32 vcc_lo, exec_lo, s12
	s_cbranch_vccz .LBB17_1241
; %bb.1240:
	global_load_ubyte v4, v[1:2], off
	s_waitcnt vmcnt(0)
	v_lshlrev_b32_e32 v4, 24, v4
	v_and_b32_e32 v5, 0x7f000000, v4
	v_ffbh_u32_e32 v6, v5
	v_add_nc_u32_e32 v9, 0x1000000, v5
	v_cmp_ne_u32_e32 vcc_lo, 0, v5
	v_min_u32_e32 v6, 32, v6
	v_sub_nc_u32_e64 v6, v6, 4 clamp
	v_lshlrev_b32_e32 v8, v6, v5
	v_lshlrev_b32_e32 v6, 23, v6
	v_lshrrev_b32_e32 v8, 4, v8
	v_sub_nc_u32_e32 v6, v8, v6
	v_ashrrev_i32_e32 v8, 8, v9
	v_add_nc_u32_e32 v6, 0x3c000000, v6
	v_and_or_b32 v6, 0x7f800000, v8, v6
	v_cndmask_b32_e32 v5, 0, v6, vcc_lo
	v_and_or_b32 v4, 0x80000000, v4, v5
.LBB17_1241:
	s_mov_b32 s12, 0
.LBB17_1242:
	s_andn2_b32 vcc_lo, exec_lo, s12
	s_cbranch_vccnz .LBB17_1244
; %bb.1243:
	global_load_ubyte v4, v[1:2], off
	s_waitcnt vmcnt(0)
	v_lshlrev_b32_e32 v5, 25, v4
	v_lshlrev_b16 v4, 8, v4
	v_lshrrev_b32_e32 v6, 4, v5
	v_and_or_b32 v8, 0x7f00, v4, 0.5
	v_cmp_gt_u32_e32 vcc_lo, 0x8000000, v5
	v_bfe_i32 v4, v4, 0, 16
	v_or_b32_e32 v6, 0x70000000, v6
	v_add_f32_e32 v8, -0.5, v8
	v_mul_f32_e32 v6, 0x7800000, v6
	v_cndmask_b32_e32 v5, v6, v8, vcc_lo
	v_and_or_b32 v4, 0x80000000, v4, v5
.LBB17_1244:
	s_mov_b32 s12, 0
	s_mov_b32 s13, -1
.LBB17_1245:
	s_andn2_b32 vcc_lo, exec_lo, s12
	s_mov_b32 s12, 0
	s_cbranch_vccnz .LBB17_1256
; %bb.1246:
	s_cmp_gt_i32 s5, 14
	s_cbranch_scc0 .LBB17_1249
; %bb.1247:
	s_cmp_eq_u32 s5, 15
	s_cbranch_scc0 .LBB17_1252
; %bb.1248:
	global_load_ushort v4, v[1:2], off
	s_mov_b32 s0, 0
	s_mov_b32 s13, -1
	s_waitcnt vmcnt(0)
	v_lshlrev_b32_e32 v4, 16, v4
	s_branch .LBB17_1254
.LBB17_1249:
	s_mov_b32 s12, -1
	s_branch .LBB17_1253
.LBB17_1250:
	s_or_saveexec_b32 s13, s13
	v_mov_b32_e32 v4, 0x7f800001
	s_xor_b32 exec_lo, exec_lo, s13
	s_cbranch_execz .LBB17_1231
.LBB17_1251:
	v_cmp_ne_u16_e32 vcc_lo, 0, v5
	v_mov_b32_e32 v4, 0
	s_andn2_b32 s12, s12, exec_lo
	s_and_b32 s14, vcc_lo, exec_lo
	s_or_b32 s12, s12, s14
	s_or_b32 exec_lo, exec_lo, s13
	s_and_saveexec_b32 s13, s12
	s_cbranch_execnz .LBB17_1232
	s_branch .LBB17_1233
.LBB17_1252:
	s_mov_b32 s0, -1
.LBB17_1253:
                                        ; implicit-def: $vgpr4
.LBB17_1254:
	s_and_b32 vcc_lo, exec_lo, s12
	s_mov_b32 s12, 0
	s_cbranch_vccz .LBB17_1256
; %bb.1255:
	s_cmp_lg_u32 s5, 11
	s_mov_b32 s12, -1
	s_cselect_b32 s0, -1, 0
.LBB17_1256:
	s_and_b32 vcc_lo, exec_lo, s0
	s_cbranch_vccnz .LBB17_1323
; %bb.1257:
	s_andn2_b32 vcc_lo, exec_lo, s12
	s_cbranch_vccnz .LBB17_1259
.LBB17_1258:
	global_load_ubyte v4, v[1:2], off
	s_mov_b32 s13, -1
	s_waitcnt vmcnt(0)
	v_cmp_ne_u16_e32 vcc_lo, 0, v4
	v_cndmask_b32_e64 v4, 0, 1.0, vcc_lo
.LBB17_1259:
	s_branch .LBB17_1185
.LBB17_1260:
	s_cmp_lt_i32 s5, 5
	s_cbranch_scc1 .LBB17_1265
; %bb.1261:
	s_cmp_lt_i32 s5, 8
	s_cbranch_scc1 .LBB17_1266
; %bb.1262:
	s_cmp_lt_i32 s5, 9
	s_cbranch_scc1 .LBB17_1267
; %bb.1263:
	s_cmp_gt_i32 s5, 9
	s_cbranch_scc0 .LBB17_1268
; %bb.1264:
	global_load_dwordx2 v[4:5], v[1:2], off
	s_mov_b32 s0, 0
	s_waitcnt vmcnt(0)
	v_cvt_f32_f64_e32 v4, v[4:5]
	s_branch .LBB17_1269
.LBB17_1265:
                                        ; implicit-def: $vgpr4
	s_branch .LBB17_1287
.LBB17_1266:
	s_mov_b32 s0, -1
                                        ; implicit-def: $vgpr4
	s_branch .LBB17_1275
.LBB17_1267:
	s_mov_b32 s0, -1
                                        ; implicit-def: $vgpr4
	s_branch .LBB17_1272
.LBB17_1268:
	s_mov_b32 s0, -1
                                        ; implicit-def: $vgpr4
.LBB17_1269:
	s_andn2_b32 vcc_lo, exec_lo, s0
	s_cbranch_vccnz .LBB17_1271
; %bb.1270:
	global_load_dword v4, v[1:2], off
.LBB17_1271:
	s_mov_b32 s0, 0
.LBB17_1272:
	s_andn2_b32 vcc_lo, exec_lo, s0
	s_cbranch_vccnz .LBB17_1274
; %bb.1273:
	global_load_dword v4, v[1:2], off
	s_waitcnt vmcnt(0)
	v_cvt_f32_f16_e32 v4, v4
.LBB17_1274:
	s_mov_b32 s0, 0
.LBB17_1275:
	s_andn2_b32 vcc_lo, exec_lo, s0
	s_cbranch_vccnz .LBB17_1286
; %bb.1276:
	s_cmp_lt_i32 s5, 6
	s_cbranch_scc1 .LBB17_1279
; %bb.1277:
	s_cmp_gt_i32 s5, 6
	s_cbranch_scc0 .LBB17_1280
; %bb.1278:
	global_load_dwordx2 v[4:5], v[1:2], off
	s_mov_b32 s0, 0
	s_waitcnt vmcnt(0)
	v_cvt_f32_f64_e32 v4, v[4:5]
	s_branch .LBB17_1281
.LBB17_1279:
	s_mov_b32 s0, -1
                                        ; implicit-def: $vgpr4
	s_branch .LBB17_1284
.LBB17_1280:
	s_mov_b32 s0, -1
                                        ; implicit-def: $vgpr4
.LBB17_1281:
	s_andn2_b32 vcc_lo, exec_lo, s0
	s_cbranch_vccnz .LBB17_1283
; %bb.1282:
	global_load_dword v4, v[1:2], off
.LBB17_1283:
	s_mov_b32 s0, 0
.LBB17_1284:
	s_andn2_b32 vcc_lo, exec_lo, s0
	s_cbranch_vccnz .LBB17_1286
; %bb.1285:
	global_load_ushort v4, v[1:2], off
	s_waitcnt vmcnt(0)
	v_cvt_f32_f16_e32 v4, v4
.LBB17_1286:
	s_cbranch_execnz .LBB17_1306
.LBB17_1287:
	s_cmp_lt_i32 s5, 2
	s_cbranch_scc1 .LBB17_1291
; %bb.1288:
	s_cmp_lt_i32 s5, 3
	s_cbranch_scc1 .LBB17_1292
; %bb.1289:
	s_cmp_gt_i32 s5, 3
	s_cbranch_scc0 .LBB17_1293
; %bb.1290:
	global_load_dwordx2 v[4:5], v[1:2], off
	s_mov_b32 s0, 0
	s_waitcnt vmcnt(0)
	v_xor_b32_e32 v6, v4, v5
	v_ffbh_i32_e32 v8, v5
	v_ashrrev_i32_e32 v6, 31, v6
	v_add_nc_u32_e32 v8, -1, v8
	v_add_nc_u32_e32 v6, 32, v6
	v_min_u32_e32 v6, v8, v6
	v_lshlrev_b64 v[4:5], v6, v[4:5]
	v_min_u32_e32 v4, 1, v4
	v_or_b32_e32 v4, v5, v4
	v_sub_nc_u32_e32 v5, 32, v6
	v_cvt_f32_i32_e32 v4, v4
	v_ldexp_f32 v4, v4, v5
	s_branch .LBB17_1294
.LBB17_1291:
	s_mov_b32 s0, -1
                                        ; implicit-def: $vgpr4
	s_branch .LBB17_1300
.LBB17_1292:
	s_mov_b32 s0, -1
                                        ; implicit-def: $vgpr4
	s_branch .LBB17_1297
.LBB17_1293:
	s_mov_b32 s0, -1
                                        ; implicit-def: $vgpr4
.LBB17_1294:
	s_andn2_b32 vcc_lo, exec_lo, s0
	s_cbranch_vccnz .LBB17_1296
; %bb.1295:
	global_load_dword v4, v[1:2], off
	s_waitcnt vmcnt(0)
	v_cvt_f32_i32_e32 v4, v4
.LBB17_1296:
	s_mov_b32 s0, 0
.LBB17_1297:
	s_andn2_b32 vcc_lo, exec_lo, s0
	s_cbranch_vccnz .LBB17_1299
; %bb.1298:
	global_load_sshort v4, v[1:2], off
	s_waitcnt vmcnt(0)
	v_cvt_f32_i32_e32 v4, v4
.LBB17_1299:
	s_mov_b32 s0, 0
.LBB17_1300:
	s_andn2_b32 vcc_lo, exec_lo, s0
	s_cbranch_vccnz .LBB17_1306
; %bb.1301:
	s_cmp_gt_i32 s5, 0
	s_mov_b32 s0, 0
	s_cbranch_scc0 .LBB17_1303
; %bb.1302:
	global_load_sbyte v4, v[1:2], off
	s_waitcnt vmcnt(0)
	v_cvt_f32_i32_e32 v4, v4
	s_branch .LBB17_1304
.LBB17_1303:
	s_mov_b32 s0, -1
                                        ; implicit-def: $vgpr4
.LBB17_1304:
	s_andn2_b32 vcc_lo, exec_lo, s0
	s_cbranch_vccnz .LBB17_1306
; %bb.1305:
	global_load_ubyte v1, v[1:2], off
	s_waitcnt vmcnt(0)
	v_cvt_f32_ubyte0_e32 v4, v1
.LBB17_1306:
.LBB17_1307:
	s_waitcnt vmcnt(0)
	v_cmp_ge_f32_e64 s0, 0x41000000, |v4|
	v_mul_f32_e64 v1, 0x3fb8aa3b, |v4|
                                        ; implicit-def: $vgpr2
	s_and_saveexec_b32 s12, s0
	s_xor_b32 s0, exec_lo, s12
	s_cbranch_execz .LBB17_1309
; %bb.1308:
	v_fma_f32 v2, |v4|, 0.5, -2.0
	s_mov_b32 s12, 0xa2a2e5b9
	v_rndne_f32_e32 v8, v1
	v_fma_f32 v9, 0x3fb8aa3b, |v4|, -v1
	v_cmp_ngt_f32_e64 vcc_lo, 0xc2ce8ed0, |v4|
	v_fmaak_f32 v5, s12, v2, 0x24199b15
	v_sub_f32_e32 v1, v1, v8
	v_fma_f32 v9, 0x32a5705f, |v4|, v9
	v_cvt_i32_f32_e32 v8, v8
	v_fmaak_f32 v6, v2, v5, 0x22a2e5b9
	v_add_f32_e32 v1, v1, v9
	v_add_f32_e32 v6, 0xa58c275c, v6
	v_exp_f32_e32 v1, v1
	v_fma_f32 v5, v2, v6, -v5
	v_add_f32_e32 v5, 0x26f736c5, v5
	v_ldexp_f32 v1, v1, v8
	v_fma_f32 v6, v2, v5, -v6
	v_cndmask_b32_e32 v1, 0, v1, vcc_lo
	v_cmp_nlt_f32_e64 vcc_lo, 0x42b17218, |v4|
	v_add_f32_e32 v6, 0xa8528116, v6
                                        ; implicit-def: $vgpr4
	v_cndmask_b32_e32 v1, 0x7f800000, v1, vcc_lo
	v_fma_f32 v5, v2, v6, -v5
	v_add_f32_e32 v5, 0x29acda32, v5
	v_fma_f32 v6, v2, v5, -v6
	v_add_f32_e32 v6, 0xab08b263, v6
	;; [unrolled: 2-line block ×25, first 2 shown]
	v_sub_f32_e32 v2, v2, v5
	v_mul_f32_e32 v2, 0.5, v2
	v_mul_f32_e32 v2, v1, v2
                                        ; implicit-def: $vgpr1
.LBB17_1309:
	s_andn2_saveexec_b32 s12, s0
	s_cbranch_execz .LBB17_1311
; %bb.1310:
	v_and_b32_e32 v2, 0x7fffffff, v4
	s_mov_b32 s0, 0xa3056dbb
	v_fma_f32 v10, 0x3fb8aa3b, |v4|, -v1
	v_div_scale_f32 v5, null, v2, v2, 0x42000000
	v_div_scale_f32 v2, vcc_lo, 0x42000000, v2, 0x42000000
	v_fma_f32 v10, 0x32a5705f, |v4|, v10
	v_rcp_f32_e32 v6, v5
	v_fma_f32 v8, -v5, v6, 1.0
	v_fmac_f32_e32 v6, v8, v6
	v_mul_f32_e32 v8, v2, v6
	v_fma_f32 v9, -v5, v8, v2
	v_fmac_f32_e32 v8, v9, v6
	v_rndne_f32_e32 v9, v1
	v_fma_f32 v2, -v5, v8, v2
	v_sub_f32_e32 v1, v1, v9
	v_cvt_i32_f32_e32 v9, v9
	v_div_fmas_f32 v2, v2, v6, v8
	v_mul_f32_e64 v8, 0x4f800000, |v4|
	v_cmp_gt_f32_e64 vcc_lo, 0xf800000, |v4|
	v_add_f32_e32 v1, v1, v10
	v_div_fixup_f32 v2, v2, |v4|, 0x42000000
	v_cndmask_b32_e64 v8, |v4|, v8, vcc_lo
	v_exp_f32_e32 v1, v1
	v_add_f32_e32 v2, -2.0, v2
	v_sqrt_f32_e32 v11, v8
	v_fmaak_f32 v5, s0, v2, 0xa2b236d3
	v_ldexp_f32 v1, v1, v9
	v_fmaak_f32 v6, v2, v5, 0x23056dbb
	v_add_nc_u32_e32 v10, -1, v11
	v_add_nc_u32_e32 v12, 1, v11
	v_add_f32_e32 v6, 0x244df0c1, v6
	v_fma_f32 v13, -v10, v11, v8
	v_fma_f32 v14, -v12, v11, v8
	v_fma_f32 v5, v2, v6, -v5
	v_cmp_ge_f32_e64 s0, 0, v13
	v_add_f32_e32 v5, 0x241f9ee8, v5
	v_cndmask_b32_e64 v10, v11, v10, s0
	v_cmp_lt_f32_e64 s0, 0, v14
	v_fma_f32 v6, v2, v5, -v6
	v_add_f32_e32 v6, 0xa5a3005d, v6
	v_fma_f32 v5, v2, v6, -v5
	v_add_f32_e32 v5, 0xa5c5773f, v5
	;; [unrolled: 2-line block ×20, first 2 shown]
	v_fma_f32 v2, v2, v5, -v6
	v_cndmask_b32_e64 v5, v10, v12, s0
	v_cmp_ngt_f32_e64 s0, 0xc2ce8ed0, |v4|
	v_add_f32_e32 v2, 0x3f4df315, v2
	v_mul_f32_e32 v9, 0x37800000, v5
	v_cndmask_b32_e64 v1, 0, v1, s0
	v_cmp_nlt_f32_e64 s0, 0x42b17218, |v4|
	v_sub_f32_e32 v2, v2, v6
	v_cndmask_b32_e32 v4, v5, v9, vcc_lo
	v_cmp_class_f32_e64 vcc_lo, v8, 0x260
	v_cndmask_b32_e64 v1, 0x7f800000, v1, s0
	v_mul_f32_e32 v2, 0.5, v2
	v_cndmask_b32_e32 v4, v4, v8, vcc_lo
	v_mul_f32_e32 v1, v1, v2
	v_div_scale_f32 v2, null, v4, v4, v1
	v_rcp_f32_e32 v5, v2
	v_fma_f32 v6, -v2, v5, 1.0
	v_fmac_f32_e32 v5, v6, v5
	v_div_scale_f32 v6, vcc_lo, v1, v4, v1
	v_mul_f32_e32 v8, v6, v5
	v_fma_f32 v9, -v2, v8, v6
	v_fmac_f32_e32 v8, v9, v5
	v_fma_f32 v2, -v2, v8, v6
	v_div_fmas_f32 v2, v2, v5, v8
	v_div_fixup_f32 v2, v2, v4, v1
.LBB17_1311:
	s_or_b32 exec_lo, exec_lo, s12
	v_add_nc_u32_e32 v1, s3, v3
	s_cmp_lt_i32 s5, 11
	v_ashrrev_i32_e32 v4, 31, v1
	v_add_co_u32 v3, vcc_lo, s10, v1
	v_add_co_ci_u32_e64 v4, null, s11, v4, vcc_lo
	s_cbranch_scc1 .LBB17_1318
; %bb.1312:
	s_cmp_gt_i32 s5, 25
	s_mov_b32 s12, 0
	s_cbranch_scc0 .LBB17_1320
; %bb.1313:
	s_cmp_gt_i32 s5, 28
	s_cbranch_scc0 .LBB17_1321
; %bb.1314:
	s_cmp_gt_i32 s5, 43
	;; [unrolled: 3-line block ×3, first 2 shown]
	s_cbranch_scc0 .LBB17_1324
; %bb.1316:
	s_cmp_eq_u32 s5, 46
	s_mov_b32 s14, 0
	s_cbranch_scc0 .LBB17_1325
; %bb.1317:
	global_load_dword v5, v[3:4], off
	s_mov_b32 s0, 0
	s_mov_b32 s13, -1
	s_waitcnt vmcnt(0)
	v_lshlrev_b32_e32 v5, 16, v5
	s_branch .LBB17_1327
.LBB17_1318:
	s_mov_b32 s13, 0
                                        ; implicit-def: $vgpr5
	s_cbranch_execnz .LBB17_1393
.LBB17_1319:
	s_andn2_b32 vcc_lo, exec_lo, s13
	s_cbranch_vccnz .LBB17_1658
	s_branch .LBB17_1441
.LBB17_1320:
	s_mov_b32 s14, -1
	s_mov_b32 s13, 0
	s_mov_b32 s0, 0
                                        ; implicit-def: $vgpr5
	s_branch .LBB17_1356
.LBB17_1321:
	s_mov_b32 s14, -1
	s_mov_b32 s13, 0
	s_mov_b32 s0, 0
                                        ; implicit-def: $vgpr5
	s_branch .LBB17_1337
.LBB17_1322:
	s_mov_b32 s14, -1
	s_mov_b32 s13, 0
	s_mov_b32 s0, 0
                                        ; implicit-def: $vgpr5
	s_branch .LBB17_1332
.LBB17_1323:
	s_or_b32 s4, s4, exec_lo
	s_trap 2
	s_cbranch_execz .LBB17_1258
	s_branch .LBB17_1259
.LBB17_1324:
	s_mov_b32 s14, -1
	s_mov_b32 s13, 0
	s_mov_b32 s0, 0
	s_branch .LBB17_1326
.LBB17_1325:
	s_mov_b32 s0, -1
	s_mov_b32 s13, 0
.LBB17_1326:
                                        ; implicit-def: $vgpr5
.LBB17_1327:
	s_and_b32 vcc_lo, exec_lo, s14
	s_cbranch_vccz .LBB17_1331
; %bb.1328:
	s_cmp_eq_u32 s5, 44
	s_cbranch_scc0 .LBB17_1330
; %bb.1329:
	global_load_ubyte v5, v[3:4], off
	s_mov_b32 s0, 0
	s_mov_b32 s13, -1
	s_waitcnt vmcnt(0)
	v_lshlrev_b32_e32 v6, 23, v5
	v_cmp_ne_u32_e32 vcc_lo, 0xff, v5
	v_cndmask_b32_e32 v6, 0x7f800001, v6, vcc_lo
	v_cmp_ne_u32_e32 vcc_lo, 0, v5
	v_cndmask_b32_e32 v5, 0x400000, v6, vcc_lo
	s_branch .LBB17_1331
.LBB17_1330:
	s_mov_b32 s0, -1
                                        ; implicit-def: $vgpr5
.LBB17_1331:
	s_mov_b32 s14, 0
.LBB17_1332:
	s_and_b32 vcc_lo, exec_lo, s14
	s_cbranch_vccz .LBB17_1336
; %bb.1333:
	s_cmp_eq_u32 s5, 29
	s_cbranch_scc0 .LBB17_1335
; %bb.1334:
	global_load_dwordx2 v[5:6], v[3:4], off
	s_mov_b32 s0, 0
	s_mov_b32 s13, -1
	s_mov_b32 s14, 0
	s_waitcnt vmcnt(0)
	v_ffbh_u32_e32 v8, v6
	v_min_u32_e32 v8, 32, v8
	v_lshlrev_b64 v[5:6], v8, v[5:6]
	v_min_u32_e32 v5, 1, v5
	v_or_b32_e32 v5, v6, v5
	v_sub_nc_u32_e32 v6, 32, v8
	v_cvt_f32_u32_e32 v5, v5
	v_ldexp_f32 v5, v5, v6
	s_branch .LBB17_1337
.LBB17_1335:
	s_mov_b32 s0, -1
                                        ; implicit-def: $vgpr5
.LBB17_1336:
	s_mov_b32 s14, 0
.LBB17_1337:
	s_and_b32 vcc_lo, exec_lo, s14
	s_cbranch_vccz .LBB17_1355
; %bb.1338:
	s_cmp_lt_i32 s5, 27
	s_cbranch_scc1 .LBB17_1341
; %bb.1339:
	s_cmp_gt_i32 s5, 27
	s_cbranch_scc0 .LBB17_1342
; %bb.1340:
	global_load_dword v5, v[3:4], off
	s_mov_b32 s13, 0
	s_waitcnt vmcnt(0)
	v_cvt_f32_u32_e32 v5, v5
	s_branch .LBB17_1343
.LBB17_1341:
	s_mov_b32 s13, -1
                                        ; implicit-def: $vgpr5
	s_branch .LBB17_1346
.LBB17_1342:
	s_mov_b32 s13, -1
                                        ; implicit-def: $vgpr5
.LBB17_1343:
	s_andn2_b32 vcc_lo, exec_lo, s13
	s_cbranch_vccnz .LBB17_1345
; %bb.1344:
	global_load_ushort v5, v[3:4], off
	s_waitcnt vmcnt(0)
	v_cvt_f32_u32_e32 v5, v5
.LBB17_1345:
	s_mov_b32 s13, 0
.LBB17_1346:
	s_andn2_b32 vcc_lo, exec_lo, s13
	s_cbranch_vccnz .LBB17_1354
; %bb.1347:
	global_load_ubyte v6, v[3:4], off
	s_mov_b32 s13, 0
	s_mov_b32 s14, exec_lo
	s_waitcnt vmcnt(0)
	v_cmpx_lt_i16_e32 0x7f, v6
	s_xor_b32 s14, exec_lo, s14
	s_cbranch_execz .LBB17_1368
; %bb.1348:
	s_mov_b32 s13, -1
	s_mov_b32 s15, exec_lo
	v_cmpx_eq_u16_e32 0x80, v6
; %bb.1349:
	s_xor_b32 s13, exec_lo, -1
; %bb.1350:
	s_or_b32 exec_lo, exec_lo, s15
	s_and_b32 s13, s13, exec_lo
	s_or_saveexec_b32 s14, s14
	v_mov_b32_e32 v5, 0x7f800001
	s_xor_b32 exec_lo, exec_lo, s14
	s_cbranch_execnz .LBB17_1369
.LBB17_1351:
	s_or_b32 exec_lo, exec_lo, s14
	s_and_saveexec_b32 s14, s13
	s_cbranch_execz .LBB17_1353
.LBB17_1352:
	v_and_b32_e32 v5, 0xffff, v6
	v_lshlrev_b32_e32 v6, 24, v6
	v_and_b32_e32 v8, 7, v5
	v_bfe_u32 v11, v5, 3, 4
	v_and_b32_e32 v6, 0x80000000, v6
	v_ffbh_u32_e32 v9, v8
	v_cmp_eq_u32_e32 vcc_lo, 0, v11
	v_min_u32_e32 v9, 32, v9
	v_subrev_nc_u32_e32 v10, 28, v9
	v_sub_nc_u32_e32 v9, 29, v9
	v_lshlrev_b32_e32 v5, v10, v5
	v_cndmask_b32_e32 v9, v11, v9, vcc_lo
	v_and_b32_e32 v5, 7, v5
	v_cndmask_b32_e32 v5, v8, v5, vcc_lo
	v_lshl_add_u32 v8, v9, 23, 0x3b800000
	v_lshlrev_b32_e32 v5, 20, v5
	v_or3_b32 v5, v6, v8, v5
.LBB17_1353:
	s_or_b32 exec_lo, exec_lo, s14
.LBB17_1354:
	s_mov_b32 s13, -1
.LBB17_1355:
	s_mov_b32 s14, 0
.LBB17_1356:
	s_and_b32 vcc_lo, exec_lo, s14
	s_cbranch_vccz .LBB17_1389
; %bb.1357:
	s_cmp_gt_i32 s5, 22
	s_cbranch_scc0 .LBB17_1367
; %bb.1358:
	s_cmp_lt_i32 s5, 24
	s_cbranch_scc1 .LBB17_1370
; %bb.1359:
	s_cmp_gt_i32 s5, 24
	s_cbranch_scc0 .LBB17_1371
; %bb.1360:
	global_load_ubyte v6, v[3:4], off
	s_mov_b32 s13, exec_lo
	s_waitcnt vmcnt(0)
	v_cmpx_lt_i16_e32 0x7f, v6
	s_xor_b32 s13, exec_lo, s13
	s_cbranch_execz .LBB17_1383
; %bb.1361:
	s_mov_b32 s12, -1
	s_mov_b32 s14, exec_lo
	v_cmpx_eq_u16_e32 0x80, v6
; %bb.1362:
	s_xor_b32 s12, exec_lo, -1
; %bb.1363:
	s_or_b32 exec_lo, exec_lo, s14
	s_and_b32 s12, s12, exec_lo
	s_or_saveexec_b32 s13, s13
	v_mov_b32_e32 v5, 0x7f800001
	s_xor_b32 exec_lo, exec_lo, s13
	s_cbranch_execnz .LBB17_1384
.LBB17_1364:
	s_or_b32 exec_lo, exec_lo, s13
	s_and_saveexec_b32 s13, s12
	s_cbranch_execz .LBB17_1366
.LBB17_1365:
	v_and_b32_e32 v5, 0xffff, v6
	v_lshlrev_b32_e32 v6, 24, v6
	v_and_b32_e32 v8, 3, v5
	v_bfe_u32 v11, v5, 2, 5
	v_and_b32_e32 v6, 0x80000000, v6
	v_ffbh_u32_e32 v9, v8
	v_cmp_eq_u32_e32 vcc_lo, 0, v11
	v_min_u32_e32 v9, 32, v9
	v_subrev_nc_u32_e32 v10, 29, v9
	v_sub_nc_u32_e32 v9, 30, v9
	v_lshlrev_b32_e32 v5, v10, v5
	v_cndmask_b32_e32 v9, v11, v9, vcc_lo
	v_and_b32_e32 v5, 3, v5
	v_cndmask_b32_e32 v5, v8, v5, vcc_lo
	v_lshl_add_u32 v8, v9, 23, 0x37800000
	v_lshlrev_b32_e32 v5, 21, v5
	v_or3_b32 v5, v6, v8, v5
.LBB17_1366:
	s_or_b32 exec_lo, exec_lo, s13
	s_mov_b32 s12, 0
	s_branch .LBB17_1372
.LBB17_1367:
	s_mov_b32 s12, -1
                                        ; implicit-def: $vgpr5
	s_branch .LBB17_1378
.LBB17_1368:
	s_or_saveexec_b32 s14, s14
	v_mov_b32_e32 v5, 0x7f800001
	s_xor_b32 exec_lo, exec_lo, s14
	s_cbranch_execz .LBB17_1351
.LBB17_1369:
	v_cmp_ne_u16_e32 vcc_lo, 0, v6
	v_mov_b32_e32 v5, 0
	s_andn2_b32 s13, s13, exec_lo
	s_and_b32 s15, vcc_lo, exec_lo
	s_or_b32 s13, s13, s15
	s_or_b32 exec_lo, exec_lo, s14
	s_and_saveexec_b32 s14, s13
	s_cbranch_execnz .LBB17_1352
	s_branch .LBB17_1353
.LBB17_1370:
	s_mov_b32 s12, -1
                                        ; implicit-def: $vgpr5
	s_branch .LBB17_1375
.LBB17_1371:
	s_mov_b32 s12, -1
                                        ; implicit-def: $vgpr5
.LBB17_1372:
	s_and_b32 vcc_lo, exec_lo, s12
	s_cbranch_vccz .LBB17_1374
; %bb.1373:
	global_load_ubyte v5, v[3:4], off
	s_waitcnt vmcnt(0)
	v_lshlrev_b32_e32 v5, 24, v5
	v_and_b32_e32 v6, 0x7f000000, v5
	v_ffbh_u32_e32 v8, v6
	v_add_nc_u32_e32 v10, 0x1000000, v6
	v_cmp_ne_u32_e32 vcc_lo, 0, v6
	v_min_u32_e32 v8, 32, v8
	v_sub_nc_u32_e64 v8, v8, 4 clamp
	v_lshlrev_b32_e32 v9, v8, v6
	v_lshlrev_b32_e32 v8, 23, v8
	v_lshrrev_b32_e32 v9, 4, v9
	v_sub_nc_u32_e32 v8, v9, v8
	v_ashrrev_i32_e32 v9, 8, v10
	v_add_nc_u32_e32 v8, 0x3c000000, v8
	v_and_or_b32 v8, 0x7f800000, v9, v8
	v_cndmask_b32_e32 v6, 0, v8, vcc_lo
	v_and_or_b32 v5, 0x80000000, v5, v6
.LBB17_1374:
	s_mov_b32 s12, 0
.LBB17_1375:
	s_andn2_b32 vcc_lo, exec_lo, s12
	s_cbranch_vccnz .LBB17_1377
; %bb.1376:
	global_load_ubyte v5, v[3:4], off
	s_waitcnt vmcnt(0)
	v_lshlrev_b32_e32 v6, 25, v5
	v_lshlrev_b16 v5, 8, v5
	v_lshrrev_b32_e32 v8, 4, v6
	v_and_or_b32 v9, 0x7f00, v5, 0.5
	v_cmp_gt_u32_e32 vcc_lo, 0x8000000, v6
	v_bfe_i32 v5, v5, 0, 16
	v_or_b32_e32 v8, 0x70000000, v8
	v_add_f32_e32 v9, -0.5, v9
	v_mul_f32_e32 v8, 0x7800000, v8
	v_cndmask_b32_e32 v6, v8, v9, vcc_lo
	v_and_or_b32 v5, 0x80000000, v5, v6
.LBB17_1377:
	s_mov_b32 s12, 0
	s_mov_b32 s13, -1
.LBB17_1378:
	s_andn2_b32 vcc_lo, exec_lo, s12
	s_mov_b32 s12, 0
	s_cbranch_vccnz .LBB17_1389
; %bb.1379:
	s_cmp_gt_i32 s5, 14
	s_cbranch_scc0 .LBB17_1382
; %bb.1380:
	s_cmp_eq_u32 s5, 15
	s_cbranch_scc0 .LBB17_1385
; %bb.1381:
	global_load_ushort v5, v[3:4], off
	s_mov_b32 s0, 0
	s_mov_b32 s13, -1
	s_waitcnt vmcnt(0)
	v_lshlrev_b32_e32 v5, 16, v5
	s_branch .LBB17_1387
.LBB17_1382:
	s_mov_b32 s12, -1
	s_branch .LBB17_1386
.LBB17_1383:
	s_or_saveexec_b32 s13, s13
	v_mov_b32_e32 v5, 0x7f800001
	s_xor_b32 exec_lo, exec_lo, s13
	s_cbranch_execz .LBB17_1364
.LBB17_1384:
	v_cmp_ne_u16_e32 vcc_lo, 0, v6
	v_mov_b32_e32 v5, 0
	s_andn2_b32 s12, s12, exec_lo
	s_and_b32 s14, vcc_lo, exec_lo
	s_or_b32 s12, s12, s14
	s_or_b32 exec_lo, exec_lo, s13
	s_and_saveexec_b32 s13, s12
	s_cbranch_execnz .LBB17_1365
	s_branch .LBB17_1366
.LBB17_1385:
	s_mov_b32 s0, -1
.LBB17_1386:
                                        ; implicit-def: $vgpr5
.LBB17_1387:
	s_and_b32 vcc_lo, exec_lo, s12
	s_mov_b32 s12, 0
	s_cbranch_vccz .LBB17_1389
; %bb.1388:
	s_cmp_lg_u32 s5, 11
	s_mov_b32 s12, -1
	s_cselect_b32 s0, -1, 0
.LBB17_1389:
	s_and_b32 vcc_lo, exec_lo, s0
	s_cbranch_vccnz .LBB17_1456
; %bb.1390:
	s_andn2_b32 vcc_lo, exec_lo, s12
	s_cbranch_vccnz .LBB17_1392
.LBB17_1391:
	global_load_ubyte v5, v[3:4], off
	s_mov_b32 s13, -1
	s_waitcnt vmcnt(0)
	v_cmp_ne_u16_e32 vcc_lo, 0, v5
	v_cndmask_b32_e64 v5, 0, 1.0, vcc_lo
.LBB17_1392:
	s_branch .LBB17_1319
.LBB17_1393:
	s_cmp_lt_i32 s5, 5
	s_cbranch_scc1 .LBB17_1398
; %bb.1394:
	s_cmp_lt_i32 s5, 8
	s_cbranch_scc1 .LBB17_1399
; %bb.1395:
	s_cmp_lt_i32 s5, 9
	s_cbranch_scc1 .LBB17_1400
; %bb.1396:
	s_cmp_gt_i32 s5, 9
	s_cbranch_scc0 .LBB17_1401
; %bb.1397:
	global_load_dwordx2 v[5:6], v[3:4], off
	s_mov_b32 s0, 0
	s_waitcnt vmcnt(0)
	v_cvt_f32_f64_e32 v5, v[5:6]
	s_branch .LBB17_1402
.LBB17_1398:
	s_mov_b32 s0, -1
                                        ; implicit-def: $vgpr5
	s_branch .LBB17_1420
.LBB17_1399:
	s_mov_b32 s0, -1
                                        ; implicit-def: $vgpr5
	s_branch .LBB17_1408
.LBB17_1400:
	s_mov_b32 s0, -1
                                        ; implicit-def: $vgpr5
	s_branch .LBB17_1405
.LBB17_1401:
	s_mov_b32 s0, -1
                                        ; implicit-def: $vgpr5
.LBB17_1402:
	s_andn2_b32 vcc_lo, exec_lo, s0
	s_cbranch_vccnz .LBB17_1404
; %bb.1403:
	global_load_dword v5, v[3:4], off
.LBB17_1404:
	s_mov_b32 s0, 0
.LBB17_1405:
	s_andn2_b32 vcc_lo, exec_lo, s0
	s_cbranch_vccnz .LBB17_1407
; %bb.1406:
	global_load_dword v5, v[3:4], off
	s_waitcnt vmcnt(0)
	v_cvt_f32_f16_e32 v5, v5
.LBB17_1407:
	s_mov_b32 s0, 0
.LBB17_1408:
	s_andn2_b32 vcc_lo, exec_lo, s0
	s_cbranch_vccnz .LBB17_1419
; %bb.1409:
	s_cmp_lt_i32 s5, 6
	s_cbranch_scc1 .LBB17_1412
; %bb.1410:
	s_cmp_gt_i32 s5, 6
	s_cbranch_scc0 .LBB17_1413
; %bb.1411:
	global_load_dwordx2 v[5:6], v[3:4], off
	s_mov_b32 s0, 0
	s_waitcnt vmcnt(0)
	v_cvt_f32_f64_e32 v5, v[5:6]
	s_branch .LBB17_1414
.LBB17_1412:
	s_mov_b32 s0, -1
                                        ; implicit-def: $vgpr5
	s_branch .LBB17_1417
.LBB17_1413:
	s_mov_b32 s0, -1
                                        ; implicit-def: $vgpr5
.LBB17_1414:
	s_andn2_b32 vcc_lo, exec_lo, s0
	s_cbranch_vccnz .LBB17_1416
; %bb.1415:
	global_load_dword v5, v[3:4], off
.LBB17_1416:
	s_mov_b32 s0, 0
.LBB17_1417:
	s_andn2_b32 vcc_lo, exec_lo, s0
	s_cbranch_vccnz .LBB17_1419
; %bb.1418:
	global_load_ushort v5, v[3:4], off
	s_waitcnt vmcnt(0)
	v_cvt_f32_f16_e32 v5, v5
.LBB17_1419:
	s_mov_b32 s0, 0
.LBB17_1420:
	s_andn2_b32 vcc_lo, exec_lo, s0
	s_cbranch_vccnz .LBB17_1440
; %bb.1421:
	s_cmp_lt_i32 s5, 2
	s_cbranch_scc1 .LBB17_1425
; %bb.1422:
	s_cmp_lt_i32 s5, 3
	s_cbranch_scc1 .LBB17_1426
; %bb.1423:
	s_cmp_gt_i32 s5, 3
	s_cbranch_scc0 .LBB17_1427
; %bb.1424:
	global_load_dwordx2 v[5:6], v[3:4], off
	s_mov_b32 s0, 0
	s_waitcnt vmcnt(0)
	v_xor_b32_e32 v8, v5, v6
	v_ffbh_i32_e32 v9, v6
	v_ashrrev_i32_e32 v8, 31, v8
	v_add_nc_u32_e32 v9, -1, v9
	v_add_nc_u32_e32 v8, 32, v8
	v_min_u32_e32 v8, v9, v8
	v_lshlrev_b64 v[5:6], v8, v[5:6]
	v_min_u32_e32 v5, 1, v5
	v_or_b32_e32 v5, v6, v5
	v_sub_nc_u32_e32 v6, 32, v8
	v_cvt_f32_i32_e32 v5, v5
	v_ldexp_f32 v5, v5, v6
	s_branch .LBB17_1428
.LBB17_1425:
	s_mov_b32 s0, -1
                                        ; implicit-def: $vgpr5
	s_branch .LBB17_1434
.LBB17_1426:
	s_mov_b32 s0, -1
                                        ; implicit-def: $vgpr5
	s_branch .LBB17_1431
.LBB17_1427:
	s_mov_b32 s0, -1
                                        ; implicit-def: $vgpr5
.LBB17_1428:
	s_andn2_b32 vcc_lo, exec_lo, s0
	s_cbranch_vccnz .LBB17_1430
; %bb.1429:
	global_load_dword v5, v[3:4], off
	s_waitcnt vmcnt(0)
	v_cvt_f32_i32_e32 v5, v5
.LBB17_1430:
	s_mov_b32 s0, 0
.LBB17_1431:
	s_andn2_b32 vcc_lo, exec_lo, s0
	s_cbranch_vccnz .LBB17_1433
; %bb.1432:
	global_load_sshort v5, v[3:4], off
	s_waitcnt vmcnt(0)
	v_cvt_f32_i32_e32 v5, v5
.LBB17_1433:
	s_mov_b32 s0, 0
.LBB17_1434:
	s_andn2_b32 vcc_lo, exec_lo, s0
	s_cbranch_vccnz .LBB17_1440
; %bb.1435:
	s_cmp_gt_i32 s5, 0
	s_mov_b32 s0, 0
	s_cbranch_scc0 .LBB17_1437
; %bb.1436:
	global_load_sbyte v5, v[3:4], off
	s_waitcnt vmcnt(0)
	v_cvt_f32_i32_e32 v5, v5
	s_branch .LBB17_1438
.LBB17_1437:
	s_mov_b32 s0, -1
                                        ; implicit-def: $vgpr5
.LBB17_1438:
	s_andn2_b32 vcc_lo, exec_lo, s0
	s_cbranch_vccnz .LBB17_1440
; %bb.1439:
	global_load_ubyte v3, v[3:4], off
	s_waitcnt vmcnt(0)
	v_cvt_f32_ubyte0_e32 v5, v3
.LBB17_1440:
.LBB17_1441:
	s_waitcnt vmcnt(0)
	v_cmp_ge_f32_e64 s0, 0x41000000, |v5|
	v_mul_f32_e64 v3, 0x3fb8aa3b, |v5|
                                        ; implicit-def: $vgpr4
	s_and_saveexec_b32 s12, s0
	s_xor_b32 s0, exec_lo, s12
	s_cbranch_execz .LBB17_1443
; %bb.1442:
	v_fma_f32 v4, |v5|, 0.5, -2.0
	s_mov_b32 s12, 0xa2a2e5b9
	v_rndne_f32_e32 v9, v3
	v_fma_f32 v10, 0x3fb8aa3b, |v5|, -v3
	v_cmp_ngt_f32_e64 vcc_lo, 0xc2ce8ed0, |v5|
	v_fmaak_f32 v6, s12, v4, 0x24199b15
	v_sub_f32_e32 v3, v3, v9
	v_fma_f32 v10, 0x32a5705f, |v5|, v10
	v_cvt_i32_f32_e32 v9, v9
	v_fmaak_f32 v8, v4, v6, 0x22a2e5b9
	v_add_f32_e32 v3, v3, v10
	v_add_f32_e32 v8, 0xa58c275c, v8
	v_exp_f32_e32 v3, v3
	v_fma_f32 v6, v4, v8, -v6
	v_add_f32_e32 v6, 0x26f736c5, v6
	v_ldexp_f32 v3, v3, v9
	v_fma_f32 v8, v4, v6, -v8
	v_cndmask_b32_e32 v3, 0, v3, vcc_lo
	v_cmp_nlt_f32_e64 vcc_lo, 0x42b17218, |v5|
	v_add_f32_e32 v8, 0xa8528116, v8
                                        ; implicit-def: $vgpr5
	v_cndmask_b32_e32 v3, 0x7f800000, v3, vcc_lo
	v_fma_f32 v6, v4, v8, -v6
	v_add_f32_e32 v6, 0x29acda32, v6
	v_fma_f32 v8, v4, v6, -v8
	v_add_f32_e32 v8, 0xab08b263, v8
	;; [unrolled: 2-line block ×25, first 2 shown]
	v_sub_f32_e32 v4, v4, v6
	v_mul_f32_e32 v4, 0.5, v4
	v_mul_f32_e32 v4, v3, v4
                                        ; implicit-def: $vgpr3
.LBB17_1443:
	s_andn2_saveexec_b32 s12, s0
	s_cbranch_execz .LBB17_1445
; %bb.1444:
	v_and_b32_e32 v4, 0x7fffffff, v5
	s_mov_b32 s0, 0xa3056dbb
	v_fma_f32 v11, 0x3fb8aa3b, |v5|, -v3
	v_div_scale_f32 v6, null, v4, v4, 0x42000000
	v_div_scale_f32 v4, vcc_lo, 0x42000000, v4, 0x42000000
	v_fma_f32 v11, 0x32a5705f, |v5|, v11
	v_rcp_f32_e32 v8, v6
	v_fma_f32 v9, -v6, v8, 1.0
	v_fmac_f32_e32 v8, v9, v8
	v_mul_f32_e32 v9, v4, v8
	v_fma_f32 v10, -v6, v9, v4
	v_fmac_f32_e32 v9, v10, v8
	v_rndne_f32_e32 v10, v3
	v_fma_f32 v4, -v6, v9, v4
	v_sub_f32_e32 v3, v3, v10
	v_cvt_i32_f32_e32 v10, v10
	v_div_fmas_f32 v4, v4, v8, v9
	v_mul_f32_e64 v9, 0x4f800000, |v5|
	v_cmp_gt_f32_e64 vcc_lo, 0xf800000, |v5|
	v_add_f32_e32 v3, v3, v11
	v_div_fixup_f32 v4, v4, |v5|, 0x42000000
	v_cndmask_b32_e64 v9, |v5|, v9, vcc_lo
	v_exp_f32_e32 v3, v3
	v_add_f32_e32 v4, -2.0, v4
	v_sqrt_f32_e32 v12, v9
	v_fmaak_f32 v6, s0, v4, 0xa2b236d3
	v_ldexp_f32 v3, v3, v10
	v_fmaak_f32 v8, v4, v6, 0x23056dbb
	v_add_nc_u32_e32 v11, -1, v12
	v_add_nc_u32_e32 v13, 1, v12
	v_add_f32_e32 v8, 0x244df0c1, v8
	v_fma_f32 v14, -v11, v12, v9
	v_fma_f32 v15, -v13, v12, v9
	v_fma_f32 v6, v4, v8, -v6
	v_cmp_ge_f32_e64 s0, 0, v14
	v_add_f32_e32 v6, 0x241f9ee8, v6
	v_cndmask_b32_e64 v11, v12, v11, s0
	v_cmp_lt_f32_e64 s0, 0, v15
	v_fma_f32 v8, v4, v6, -v8
	v_add_f32_e32 v8, 0xa5a3005d, v8
	v_fma_f32 v6, v4, v8, -v6
	v_add_f32_e32 v6, 0xa5c5773f, v6
	;; [unrolled: 2-line block ×20, first 2 shown]
	v_fma_f32 v4, v4, v6, -v8
	v_cndmask_b32_e64 v6, v11, v13, s0
	v_cmp_ngt_f32_e64 s0, 0xc2ce8ed0, |v5|
	v_add_f32_e32 v4, 0x3f4df315, v4
	v_mul_f32_e32 v10, 0x37800000, v6
	v_cndmask_b32_e64 v3, 0, v3, s0
	v_cmp_nlt_f32_e64 s0, 0x42b17218, |v5|
	v_sub_f32_e32 v4, v4, v8
	v_cndmask_b32_e32 v5, v6, v10, vcc_lo
	v_cmp_class_f32_e64 vcc_lo, v9, 0x260
	v_cndmask_b32_e64 v3, 0x7f800000, v3, s0
	v_mul_f32_e32 v4, 0.5, v4
	v_cndmask_b32_e32 v5, v5, v9, vcc_lo
	v_mul_f32_e32 v3, v3, v4
	v_div_scale_f32 v4, null, v5, v5, v3
	v_rcp_f32_e32 v6, v4
	v_fma_f32 v8, -v4, v6, 1.0
	v_fmac_f32_e32 v6, v8, v6
	v_div_scale_f32 v8, vcc_lo, v3, v5, v3
	v_mul_f32_e32 v9, v8, v6
	v_fma_f32 v10, -v4, v9, v8
	v_fmac_f32_e32 v9, v10, v6
	v_fma_f32 v4, -v4, v9, v8
	v_div_fmas_f32 v4, v4, v6, v9
	v_div_fixup_f32 v4, v4, v5, v3
.LBB17_1445:
	s_or_b32 exec_lo, exec_lo, s12
	v_add_nc_u32_e32 v1, s3, v1
	s_cmp_lt_i32 s5, 11
	v_ashrrev_i32_e32 v3, 31, v1
	v_add_co_u32 v5, vcc_lo, s10, v1
	v_add_co_ci_u32_e64 v6, null, s11, v3, vcc_lo
	s_cbranch_scc1 .LBB17_1452
; %bb.1446:
	s_cmp_gt_i32 s5, 25
	s_mov_b32 s3, 0
	s_cbranch_scc0 .LBB17_1453
; %bb.1447:
	s_cmp_gt_i32 s5, 28
	s_cbranch_scc0 .LBB17_1454
; %bb.1448:
	s_cmp_gt_i32 s5, 43
	;; [unrolled: 3-line block ×3, first 2 shown]
	s_cbranch_scc0 .LBB17_1457
; %bb.1450:
	s_cmp_eq_u32 s5, 46
	s_mov_b32 s11, 0
	s_cbranch_scc0 .LBB17_1458
; %bb.1451:
	global_load_dword v1, v[5:6], off
	s_mov_b32 s0, 0
	s_mov_b32 s10, -1
	s_waitcnt vmcnt(0)
	v_lshlrev_b32_e32 v1, 16, v1
	s_branch .LBB17_1460
.LBB17_1452:
	s_mov_b32 s0, -1
	s_mov_b32 s10, 0
                                        ; implicit-def: $vgpr1
	s_branch .LBB17_1526
.LBB17_1453:
	s_mov_b32 s11, -1
	s_mov_b32 s10, 0
	s_mov_b32 s0, 0
                                        ; implicit-def: $vgpr1
	s_branch .LBB17_1489
.LBB17_1454:
	s_mov_b32 s11, -1
	s_mov_b32 s10, 0
	s_mov_b32 s0, 0
                                        ; implicit-def: $vgpr1
	s_branch .LBB17_1470
.LBB17_1455:
	s_mov_b32 s11, -1
	s_mov_b32 s10, 0
	s_mov_b32 s0, 0
                                        ; implicit-def: $vgpr1
	s_branch .LBB17_1465
.LBB17_1456:
	s_or_b32 s4, s4, exec_lo
	s_trap 2
	s_cbranch_execz .LBB17_1391
	s_branch .LBB17_1392
.LBB17_1457:
	s_mov_b32 s11, -1
	s_mov_b32 s10, 0
	s_mov_b32 s0, 0
	s_branch .LBB17_1459
.LBB17_1458:
	s_mov_b32 s0, -1
	s_mov_b32 s10, 0
.LBB17_1459:
                                        ; implicit-def: $vgpr1
.LBB17_1460:
	s_and_b32 vcc_lo, exec_lo, s11
	s_cbranch_vccz .LBB17_1464
; %bb.1461:
	s_cmp_eq_u32 s5, 44
	s_cbranch_scc0 .LBB17_1463
; %bb.1462:
	global_load_ubyte v1, v[5:6], off
	s_mov_b32 s0, 0
	s_mov_b32 s10, -1
	s_waitcnt vmcnt(0)
	v_lshlrev_b32_e32 v3, 23, v1
	v_cmp_ne_u32_e32 vcc_lo, 0xff, v1
	v_cndmask_b32_e32 v3, 0x7f800001, v3, vcc_lo
	v_cmp_ne_u32_e32 vcc_lo, 0, v1
	v_cndmask_b32_e32 v1, 0x400000, v3, vcc_lo
	s_branch .LBB17_1464
.LBB17_1463:
	s_mov_b32 s0, -1
                                        ; implicit-def: $vgpr1
.LBB17_1464:
	s_mov_b32 s11, 0
.LBB17_1465:
	s_and_b32 vcc_lo, exec_lo, s11
	s_cbranch_vccz .LBB17_1469
; %bb.1466:
	s_cmp_eq_u32 s5, 29
	s_cbranch_scc0 .LBB17_1468
; %bb.1467:
	global_load_dwordx2 v[8:9], v[5:6], off
	s_mov_b32 s0, 0
	s_mov_b32 s10, -1
	s_mov_b32 s11, 0
	s_waitcnt vmcnt(0)
	v_ffbh_u32_e32 v1, v9
	v_min_u32_e32 v1, 32, v1
	v_lshlrev_b64 v[8:9], v1, v[8:9]
	v_sub_nc_u32_e32 v1, 32, v1
	v_min_u32_e32 v3, 1, v8
	v_or_b32_e32 v3, v9, v3
	v_cvt_f32_u32_e32 v3, v3
	v_ldexp_f32 v1, v3, v1
	s_branch .LBB17_1470
.LBB17_1468:
	s_mov_b32 s0, -1
                                        ; implicit-def: $vgpr1
.LBB17_1469:
	s_mov_b32 s11, 0
.LBB17_1470:
	s_and_b32 vcc_lo, exec_lo, s11
	s_cbranch_vccz .LBB17_1488
; %bb.1471:
	s_cmp_lt_i32 s5, 27
	s_cbranch_scc1 .LBB17_1474
; %bb.1472:
	s_cmp_gt_i32 s5, 27
	s_cbranch_scc0 .LBB17_1475
; %bb.1473:
	global_load_dword v1, v[5:6], off
	s_mov_b32 s10, 0
	s_waitcnt vmcnt(0)
	v_cvt_f32_u32_e32 v1, v1
	s_branch .LBB17_1476
.LBB17_1474:
	s_mov_b32 s10, -1
                                        ; implicit-def: $vgpr1
	s_branch .LBB17_1479
.LBB17_1475:
	s_mov_b32 s10, -1
                                        ; implicit-def: $vgpr1
.LBB17_1476:
	s_andn2_b32 vcc_lo, exec_lo, s10
	s_cbranch_vccnz .LBB17_1478
; %bb.1477:
	global_load_ushort v1, v[5:6], off
	s_waitcnt vmcnt(0)
	v_cvt_f32_u32_e32 v1, v1
.LBB17_1478:
	s_mov_b32 s10, 0
.LBB17_1479:
	s_andn2_b32 vcc_lo, exec_lo, s10
	s_cbranch_vccnz .LBB17_1487
; %bb.1480:
	global_load_ubyte v3, v[5:6], off
	s_mov_b32 s10, 0
	s_mov_b32 s11, exec_lo
	s_waitcnt vmcnt(0)
	v_cmpx_lt_i16_e32 0x7f, v3
	s_xor_b32 s11, exec_lo, s11
	s_cbranch_execz .LBB17_1501
; %bb.1481:
	s_mov_b32 s10, -1
	s_mov_b32 s12, exec_lo
	v_cmpx_eq_u16_e32 0x80, v3
; %bb.1482:
	s_xor_b32 s10, exec_lo, -1
; %bb.1483:
	s_or_b32 exec_lo, exec_lo, s12
	s_and_b32 s10, s10, exec_lo
	s_or_saveexec_b32 s11, s11
	v_mov_b32_e32 v1, 0x7f800001
	s_xor_b32 exec_lo, exec_lo, s11
	s_cbranch_execnz .LBB17_1502
.LBB17_1484:
	s_or_b32 exec_lo, exec_lo, s11
	s_and_saveexec_b32 s11, s10
	s_cbranch_execz .LBB17_1486
.LBB17_1485:
	v_and_b32_e32 v1, 0xffff, v3
	v_lshlrev_b32_e32 v3, 24, v3
	v_and_b32_e32 v8, 7, v1
	v_bfe_u32 v11, v1, 3, 4
	v_and_b32_e32 v3, 0x80000000, v3
	v_ffbh_u32_e32 v9, v8
	v_cmp_eq_u32_e32 vcc_lo, 0, v11
	v_min_u32_e32 v9, 32, v9
	v_subrev_nc_u32_e32 v10, 28, v9
	v_sub_nc_u32_e32 v9, 29, v9
	v_lshlrev_b32_e32 v1, v10, v1
	v_cndmask_b32_e32 v9, v11, v9, vcc_lo
	v_and_b32_e32 v1, 7, v1
	v_cndmask_b32_e32 v1, v8, v1, vcc_lo
	v_lshl_add_u32 v8, v9, 23, 0x3b800000
	v_lshlrev_b32_e32 v1, 20, v1
	v_or3_b32 v1, v3, v8, v1
.LBB17_1486:
	s_or_b32 exec_lo, exec_lo, s11
.LBB17_1487:
	s_mov_b32 s10, -1
.LBB17_1488:
	s_mov_b32 s11, 0
.LBB17_1489:
	s_and_b32 vcc_lo, exec_lo, s11
	s_cbranch_vccz .LBB17_1522
; %bb.1490:
	s_cmp_gt_i32 s5, 22
	s_cbranch_scc0 .LBB17_1500
; %bb.1491:
	s_cmp_lt_i32 s5, 24
	s_cbranch_scc1 .LBB17_1503
; %bb.1492:
	s_cmp_gt_i32 s5, 24
	s_cbranch_scc0 .LBB17_1504
; %bb.1493:
	global_load_ubyte v3, v[5:6], off
	s_mov_b32 s10, exec_lo
	s_waitcnt vmcnt(0)
	v_cmpx_lt_i16_e32 0x7f, v3
	s_xor_b32 s10, exec_lo, s10
	s_cbranch_execz .LBB17_1516
; %bb.1494:
	s_mov_b32 s3, -1
	s_mov_b32 s11, exec_lo
	v_cmpx_eq_u16_e32 0x80, v3
; %bb.1495:
	s_xor_b32 s3, exec_lo, -1
; %bb.1496:
	s_or_b32 exec_lo, exec_lo, s11
	s_and_b32 s3, s3, exec_lo
	s_or_saveexec_b32 s10, s10
	v_mov_b32_e32 v1, 0x7f800001
	s_xor_b32 exec_lo, exec_lo, s10
	s_cbranch_execnz .LBB17_1517
.LBB17_1497:
	s_or_b32 exec_lo, exec_lo, s10
	s_and_saveexec_b32 s10, s3
	s_cbranch_execz .LBB17_1499
.LBB17_1498:
	v_and_b32_e32 v1, 0xffff, v3
	v_lshlrev_b32_e32 v3, 24, v3
	v_and_b32_e32 v8, 3, v1
	v_bfe_u32 v11, v1, 2, 5
	v_and_b32_e32 v3, 0x80000000, v3
	v_ffbh_u32_e32 v9, v8
	v_cmp_eq_u32_e32 vcc_lo, 0, v11
	v_min_u32_e32 v9, 32, v9
	v_subrev_nc_u32_e32 v10, 29, v9
	v_sub_nc_u32_e32 v9, 30, v9
	v_lshlrev_b32_e32 v1, v10, v1
	v_cndmask_b32_e32 v9, v11, v9, vcc_lo
	v_and_b32_e32 v1, 3, v1
	v_cndmask_b32_e32 v1, v8, v1, vcc_lo
	v_lshl_add_u32 v8, v9, 23, 0x37800000
	v_lshlrev_b32_e32 v1, 21, v1
	v_or3_b32 v1, v3, v8, v1
.LBB17_1499:
	s_or_b32 exec_lo, exec_lo, s10
	s_mov_b32 s3, 0
	s_branch .LBB17_1505
.LBB17_1500:
	s_mov_b32 s3, -1
                                        ; implicit-def: $vgpr1
	s_branch .LBB17_1511
.LBB17_1501:
	s_or_saveexec_b32 s11, s11
	v_mov_b32_e32 v1, 0x7f800001
	s_xor_b32 exec_lo, exec_lo, s11
	s_cbranch_execz .LBB17_1484
.LBB17_1502:
	v_cmp_ne_u16_e32 vcc_lo, 0, v3
	v_mov_b32_e32 v1, 0
	s_andn2_b32 s10, s10, exec_lo
	s_and_b32 s12, vcc_lo, exec_lo
	s_or_b32 s10, s10, s12
	s_or_b32 exec_lo, exec_lo, s11
	s_and_saveexec_b32 s11, s10
	s_cbranch_execnz .LBB17_1485
	s_branch .LBB17_1486
.LBB17_1503:
	s_mov_b32 s3, -1
                                        ; implicit-def: $vgpr1
	s_branch .LBB17_1508
.LBB17_1504:
	s_mov_b32 s3, -1
                                        ; implicit-def: $vgpr1
.LBB17_1505:
	s_and_b32 vcc_lo, exec_lo, s3
	s_cbranch_vccz .LBB17_1507
; %bb.1506:
	global_load_ubyte v1, v[5:6], off
	s_waitcnt vmcnt(0)
	v_lshlrev_b32_e32 v1, 24, v1
	v_and_b32_e32 v3, 0x7f000000, v1
	v_ffbh_u32_e32 v8, v3
	v_add_nc_u32_e32 v10, 0x1000000, v3
	v_cmp_ne_u32_e32 vcc_lo, 0, v3
	v_min_u32_e32 v8, 32, v8
	v_sub_nc_u32_e64 v8, v8, 4 clamp
	v_lshlrev_b32_e32 v9, v8, v3
	v_lshlrev_b32_e32 v8, 23, v8
	v_lshrrev_b32_e32 v9, 4, v9
	v_sub_nc_u32_e32 v8, v9, v8
	v_ashrrev_i32_e32 v9, 8, v10
	v_add_nc_u32_e32 v8, 0x3c000000, v8
	v_and_or_b32 v8, 0x7f800000, v9, v8
	v_cndmask_b32_e32 v3, 0, v8, vcc_lo
	v_and_or_b32 v1, 0x80000000, v1, v3
.LBB17_1507:
	s_mov_b32 s3, 0
.LBB17_1508:
	s_andn2_b32 vcc_lo, exec_lo, s3
	s_cbranch_vccnz .LBB17_1510
; %bb.1509:
	global_load_ubyte v1, v[5:6], off
	s_waitcnt vmcnt(0)
	v_lshlrev_b32_e32 v3, 25, v1
	v_lshlrev_b16 v1, 8, v1
	v_lshrrev_b32_e32 v8, 4, v3
	v_and_or_b32 v9, 0x7f00, v1, 0.5
	v_cmp_gt_u32_e32 vcc_lo, 0x8000000, v3
	v_bfe_i32 v1, v1, 0, 16
	v_or_b32_e32 v8, 0x70000000, v8
	v_add_f32_e32 v9, -0.5, v9
	v_mul_f32_e32 v8, 0x7800000, v8
	v_cndmask_b32_e32 v3, v8, v9, vcc_lo
	v_and_or_b32 v1, 0x80000000, v1, v3
.LBB17_1510:
	s_mov_b32 s3, 0
	s_mov_b32 s10, -1
.LBB17_1511:
	s_andn2_b32 vcc_lo, exec_lo, s3
	s_mov_b32 s3, 0
	s_cbranch_vccnz .LBB17_1522
; %bb.1512:
	s_cmp_gt_i32 s5, 14
	s_cbranch_scc0 .LBB17_1515
; %bb.1513:
	s_cmp_eq_u32 s5, 15
	s_cbranch_scc0 .LBB17_1518
; %bb.1514:
	global_load_ushort v1, v[5:6], off
	s_mov_b32 s0, 0
	s_mov_b32 s10, -1
	s_waitcnt vmcnt(0)
	v_lshlrev_b32_e32 v1, 16, v1
	s_branch .LBB17_1520
.LBB17_1515:
	s_mov_b32 s3, -1
	s_branch .LBB17_1519
.LBB17_1516:
	s_or_saveexec_b32 s10, s10
	v_mov_b32_e32 v1, 0x7f800001
	s_xor_b32 exec_lo, exec_lo, s10
	s_cbranch_execz .LBB17_1497
.LBB17_1517:
	v_cmp_ne_u16_e32 vcc_lo, 0, v3
	v_mov_b32_e32 v1, 0
	s_andn2_b32 s3, s3, exec_lo
	s_and_b32 s11, vcc_lo, exec_lo
	s_or_b32 s3, s3, s11
	s_or_b32 exec_lo, exec_lo, s10
	s_and_saveexec_b32 s10, s3
	s_cbranch_execnz .LBB17_1498
	s_branch .LBB17_1499
.LBB17_1518:
	s_mov_b32 s0, -1
.LBB17_1519:
                                        ; implicit-def: $vgpr1
.LBB17_1520:
	s_and_b32 vcc_lo, exec_lo, s3
	s_mov_b32 s3, 0
	s_cbranch_vccz .LBB17_1522
; %bb.1521:
	s_cmp_lg_u32 s5, 11
	s_mov_b32 s3, -1
	s_cselect_b32 s0, -1, 0
.LBB17_1522:
	s_and_b32 vcc_lo, exec_lo, s0
	s_cbranch_vccnz .LBB17_2060
; %bb.1523:
	s_andn2_b32 vcc_lo, exec_lo, s3
	s_cbranch_vccnz .LBB17_1525
.LBB17_1524:
	global_load_ubyte v1, v[5:6], off
	s_mov_b32 s10, -1
	s_waitcnt vmcnt(0)
	v_cmp_ne_u16_e32 vcc_lo, 0, v1
	v_cndmask_b32_e64 v1, 0, 1.0, vcc_lo
.LBB17_1525:
	s_mov_b32 s0, 0
.LBB17_1526:
	s_and_b32 vcc_lo, exec_lo, s0
	s_cbranch_vccz .LBB17_1575
; %bb.1527:
	s_cmp_lt_i32 s5, 5
	s_cbranch_scc1 .LBB17_1532
; %bb.1528:
	s_cmp_lt_i32 s5, 8
	s_cbranch_scc1 .LBB17_1533
	;; [unrolled: 3-line block ×3, first 2 shown]
; %bb.1530:
	s_cmp_gt_i32 s5, 9
	s_cbranch_scc0 .LBB17_1535
; %bb.1531:
	global_load_dwordx2 v[8:9], v[5:6], off
	s_mov_b32 s0, 0
	s_waitcnt vmcnt(0)
	v_cvt_f32_f64_e32 v1, v[8:9]
	s_branch .LBB17_1536
.LBB17_1532:
	s_mov_b32 s0, -1
                                        ; implicit-def: $vgpr1
	s_branch .LBB17_1554
.LBB17_1533:
	s_mov_b32 s0, -1
                                        ; implicit-def: $vgpr1
	s_branch .LBB17_1542
.LBB17_1534:
	s_mov_b32 s0, -1
                                        ; implicit-def: $vgpr1
	s_branch .LBB17_1539
.LBB17_1535:
	s_mov_b32 s0, -1
                                        ; implicit-def: $vgpr1
.LBB17_1536:
	s_andn2_b32 vcc_lo, exec_lo, s0
	s_cbranch_vccnz .LBB17_1538
; %bb.1537:
	global_load_dword v1, v[5:6], off
.LBB17_1538:
	s_mov_b32 s0, 0
.LBB17_1539:
	s_andn2_b32 vcc_lo, exec_lo, s0
	s_cbranch_vccnz .LBB17_1541
; %bb.1540:
	global_load_dword v1, v[5:6], off
	s_waitcnt vmcnt(0)
	v_cvt_f32_f16_e32 v1, v1
.LBB17_1541:
	s_mov_b32 s0, 0
.LBB17_1542:
	s_andn2_b32 vcc_lo, exec_lo, s0
	s_cbranch_vccnz .LBB17_1553
; %bb.1543:
	s_cmp_lt_i32 s5, 6
	s_cbranch_scc1 .LBB17_1546
; %bb.1544:
	s_cmp_gt_i32 s5, 6
	s_cbranch_scc0 .LBB17_1547
; %bb.1545:
	global_load_dwordx2 v[8:9], v[5:6], off
	s_mov_b32 s0, 0
	s_waitcnt vmcnt(0)
	v_cvt_f32_f64_e32 v1, v[8:9]
	s_branch .LBB17_1548
.LBB17_1546:
	s_mov_b32 s0, -1
                                        ; implicit-def: $vgpr1
	s_branch .LBB17_1551
.LBB17_1547:
	s_mov_b32 s0, -1
                                        ; implicit-def: $vgpr1
.LBB17_1548:
	s_andn2_b32 vcc_lo, exec_lo, s0
	s_cbranch_vccnz .LBB17_1550
; %bb.1549:
	global_load_dword v1, v[5:6], off
.LBB17_1550:
	s_mov_b32 s0, 0
.LBB17_1551:
	s_andn2_b32 vcc_lo, exec_lo, s0
	s_cbranch_vccnz .LBB17_1553
; %bb.1552:
	global_load_ushort v1, v[5:6], off
	s_waitcnt vmcnt(0)
	v_cvt_f32_f16_e32 v1, v1
.LBB17_1553:
	s_mov_b32 s0, 0
.LBB17_1554:
	s_andn2_b32 vcc_lo, exec_lo, s0
	s_cbranch_vccnz .LBB17_1574
; %bb.1555:
	s_cmp_lt_i32 s5, 2
	s_cbranch_scc1 .LBB17_1559
; %bb.1556:
	s_cmp_lt_i32 s5, 3
	s_cbranch_scc1 .LBB17_1560
; %bb.1557:
	s_cmp_gt_i32 s5, 3
	s_cbranch_scc0 .LBB17_1561
; %bb.1558:
	global_load_dwordx2 v[8:9], v[5:6], off
	s_mov_b32 s0, 0
	s_waitcnt vmcnt(0)
	v_xor_b32_e32 v1, v8, v9
	v_ffbh_i32_e32 v3, v9
	v_ashrrev_i32_e32 v1, 31, v1
	v_add_nc_u32_e32 v3, -1, v3
	v_add_nc_u32_e32 v1, 32, v1
	v_min_u32_e32 v1, v3, v1
	v_lshlrev_b64 v[8:9], v1, v[8:9]
	v_sub_nc_u32_e32 v1, 32, v1
	v_min_u32_e32 v3, 1, v8
	v_or_b32_e32 v3, v9, v3
	v_cvt_f32_i32_e32 v3, v3
	v_ldexp_f32 v1, v3, v1
	s_branch .LBB17_1562
.LBB17_1559:
	s_mov_b32 s0, -1
                                        ; implicit-def: $vgpr1
	s_branch .LBB17_1568
.LBB17_1560:
	s_mov_b32 s0, -1
                                        ; implicit-def: $vgpr1
	s_branch .LBB17_1565
.LBB17_1561:
	s_mov_b32 s0, -1
                                        ; implicit-def: $vgpr1
.LBB17_1562:
	s_andn2_b32 vcc_lo, exec_lo, s0
	s_cbranch_vccnz .LBB17_1564
; %bb.1563:
	global_load_dword v1, v[5:6], off
	s_waitcnt vmcnt(0)
	v_cvt_f32_i32_e32 v1, v1
.LBB17_1564:
	s_mov_b32 s0, 0
.LBB17_1565:
	s_andn2_b32 vcc_lo, exec_lo, s0
	s_cbranch_vccnz .LBB17_1567
; %bb.1566:
	global_load_sshort v1, v[5:6], off
	s_waitcnt vmcnt(0)
	v_cvt_f32_i32_e32 v1, v1
.LBB17_1567:
	s_mov_b32 s0, 0
.LBB17_1568:
	s_andn2_b32 vcc_lo, exec_lo, s0
	s_cbranch_vccnz .LBB17_1574
; %bb.1569:
	s_cmp_gt_i32 s5, 0
	s_mov_b32 s0, 0
	s_cbranch_scc0 .LBB17_1571
; %bb.1570:
	global_load_sbyte v1, v[5:6], off
	s_waitcnt vmcnt(0)
	v_cvt_f32_i32_e32 v1, v1
	s_branch .LBB17_1572
.LBB17_1571:
	s_mov_b32 s0, -1
                                        ; implicit-def: $vgpr1
.LBB17_1572:
	s_andn2_b32 vcc_lo, exec_lo, s0
	s_cbranch_vccnz .LBB17_1574
; %bb.1573:
	global_load_ubyte v1, v[5:6], off
	s_waitcnt vmcnt(0)
	v_cvt_f32_ubyte0_e32 v1, v1
.LBB17_1574:
	s_mov_b32 s10, -1
.LBB17_1575:
	s_andn2_b32 vcc_lo, exec_lo, s10
	s_cbranch_vccnz .LBB17_1658
; %bb.1576:
	s_waitcnt vmcnt(0)
	v_cmp_ge_f32_e64 s0, 0x41000000, |v1|
	v_mul_f32_e64 v3, 0x3fb8aa3b, |v1|
                                        ; implicit-def: $vgpr6
	s_and_saveexec_b32 s3, s0
	s_xor_b32 s0, exec_lo, s3
	s_cbranch_execz .LBB17_1578
; %bb.1577:
	v_fma_f32 v5, |v1|, 0.5, -2.0
	s_mov_b32 s3, 0xa2a2e5b9
	v_rndne_f32_e32 v9, v3
	v_fma_f32 v10, 0x3fb8aa3b, |v1|, -v3
	v_cmp_ngt_f32_e64 vcc_lo, 0xc2ce8ed0, |v1|
	v_fmaak_f32 v6, s3, v5, 0x24199b15
	v_sub_f32_e32 v3, v3, v9
	v_fma_f32 v10, 0x32a5705f, |v1|, v10
	v_cvt_i32_f32_e32 v9, v9
	v_fmaak_f32 v8, v5, v6, 0x22a2e5b9
	v_add_f32_e32 v3, v3, v10
	v_add_f32_e32 v8, 0xa58c275c, v8
	v_exp_f32_e32 v3, v3
	v_fma_f32 v6, v5, v8, -v6
	v_add_f32_e32 v6, 0x26f736c5, v6
	v_ldexp_f32 v3, v3, v9
	v_fma_f32 v8, v5, v6, -v8
	v_cndmask_b32_e32 v3, 0, v3, vcc_lo
	v_cmp_nlt_f32_e64 vcc_lo, 0x42b17218, |v1|
	v_add_f32_e32 v8, 0xa8528116, v8
	v_cndmask_b32_e32 v1, 0x7f800000, v3, vcc_lo
	v_fma_f32 v6, v5, v8, -v6
	v_add_f32_e32 v6, 0x29acda32, v6
	v_fma_f32 v8, v5, v6, -v8
	v_add_f32_e32 v8, 0xab08b263, v8
	;; [unrolled: 2-line block ×25, first 2 shown]
	v_sub_f32_e32 v5, v5, v6
	v_mul_f32_e32 v3, 0.5, v5
	v_mul_f32_e32 v6, v1, v3
                                        ; implicit-def: $vgpr1
                                        ; implicit-def: $vgpr3
.LBB17_1578:
	s_andn2_saveexec_b32 s3, s0
	s_cbranch_execz .LBB17_1580
; %bb.1579:
	v_and_b32_e32 v5, 0x7fffffff, v1
	s_mov_b32 s0, 0xa3056dbb
	v_fma_f32 v11, 0x3fb8aa3b, |v1|, -v3
	v_div_scale_f32 v6, null, v5, v5, 0x42000000
	v_div_scale_f32 v5, vcc_lo, 0x42000000, v5, 0x42000000
	v_fma_f32 v11, 0x32a5705f, |v1|, v11
	v_rcp_f32_e32 v8, v6
	v_fma_f32 v9, -v6, v8, 1.0
	v_fmac_f32_e32 v8, v9, v8
	v_mul_f32_e32 v9, v5, v8
	v_fma_f32 v10, -v6, v9, v5
	v_fmac_f32_e32 v9, v10, v8
	v_rndne_f32_e32 v10, v3
	v_fma_f32 v5, -v6, v9, v5
	v_sub_f32_e32 v3, v3, v10
	v_cvt_i32_f32_e32 v10, v10
	v_div_fmas_f32 v5, v5, v8, v9
	v_mul_f32_e64 v9, 0x4f800000, |v1|
	v_cmp_gt_f32_e64 vcc_lo, 0xf800000, |v1|
	v_add_f32_e32 v3, v3, v11
	v_div_fixup_f32 v5, v5, |v1|, 0x42000000
	v_cndmask_b32_e64 v9, |v1|, v9, vcc_lo
	v_exp_f32_e32 v3, v3
	v_add_f32_e32 v5, -2.0, v5
	v_sqrt_f32_e32 v12, v9
	v_fmaak_f32 v6, s0, v5, 0xa2b236d3
	v_ldexp_f32 v3, v3, v10
	v_fmaak_f32 v8, v5, v6, 0x23056dbb
	v_add_nc_u32_e32 v11, -1, v12
	v_add_nc_u32_e32 v13, 1, v12
	v_add_f32_e32 v8, 0x244df0c1, v8
	v_fma_f32 v14, -v11, v12, v9
	v_fma_f32 v15, -v13, v12, v9
	v_fma_f32 v6, v5, v8, -v6
	v_cmp_ge_f32_e64 s0, 0, v14
	v_add_f32_e32 v6, 0x241f9ee8, v6
	v_cndmask_b32_e64 v11, v12, v11, s0
	v_cmp_lt_f32_e64 s0, 0, v15
	v_fma_f32 v8, v5, v6, -v8
	v_add_f32_e32 v8, 0xa5a3005d, v8
	v_fma_f32 v6, v5, v8, -v6
	v_add_f32_e32 v6, 0xa5c5773f, v6
	;; [unrolled: 2-line block ×20, first 2 shown]
	v_fma_f32 v5, v5, v6, -v8
	v_cndmask_b32_e64 v6, v11, v13, s0
	v_cmp_ngt_f32_e64 s0, 0xc2ce8ed0, |v1|
	v_add_f32_e32 v5, 0x3f4df315, v5
	v_mul_f32_e32 v10, 0x37800000, v6
	v_cndmask_b32_e64 v3, 0, v3, s0
	v_cmp_nlt_f32_e64 s0, 0x42b17218, |v1|
	v_sub_f32_e32 v5, v5, v8
	v_cndmask_b32_e64 v1, 0x7f800000, v3, s0
	v_cndmask_b32_e32 v3, v6, v10, vcc_lo
	v_mul_f32_e32 v5, 0.5, v5
	v_cmp_class_f32_e64 vcc_lo, v9, 0x260
	v_mul_f32_e32 v1, v1, v5
	v_cndmask_b32_e32 v3, v3, v9, vcc_lo
	v_div_scale_f32 v5, null, v3, v3, v1
	v_rcp_f32_e32 v6, v5
	v_fma_f32 v8, -v5, v6, 1.0
	v_fmac_f32_e32 v6, v8, v6
	v_div_scale_f32 v8, vcc_lo, v1, v3, v1
	v_mul_f32_e32 v9, v8, v6
	v_fma_f32 v10, -v5, v9, v8
	v_fmac_f32_e32 v9, v10, v6
	v_fma_f32 v5, -v5, v9, v8
	v_div_fmas_f32 v5, v5, v6, v9
	v_div_fixup_f32 v6, v5, v3, v1
.LBB17_1580:
	s_or_b32 exec_lo, exec_lo, s3
	v_mul_lo_u32 v3, s2, v7
	s_and_b32 s12, s1, 0xff
	s_cmp_lt_i32 s12, 11
	v_ashrrev_i32_e32 v1, 31, v3
	v_add_co_u32 v7, vcc_lo, s8, v3
	v_add_co_ci_u32_e64 v8, null, s9, v1, vcc_lo
	s_cbranch_scc1 .LBB17_1703
; %bb.1581:
	s_and_b32 s1, 0xffff, s12
	s_mov_b32 s10, -1
	s_mov_b32 s3, 0
	s_cmp_gt_i32 s1, 25
	s_mov_b32 s5, 0
	s_mov_b32 s0, 0
	s_cbranch_scc0 .LBB17_1614
; %bb.1582:
	s_cmp_gt_i32 s1, 28
	s_cbranch_scc0 .LBB17_1597
; %bb.1583:
	s_cmp_gt_i32 s1, 43
	;; [unrolled: 3-line block ×3, first 2 shown]
	s_cbranch_scc0 .LBB17_1587
; %bb.1585:
	s_mov_b32 s0, -1
	s_mov_b32 s10, 0
	s_cmp_eq_u32 s1, 46
	s_cbranch_scc0 .LBB17_1587
; %bb.1586:
	v_bfe_u32 v1, v0, 16, 1
	v_cmp_o_f32_e32 vcc_lo, v0, v0
	v_mov_b32_e32 v5, 0x7fc0
	s_mov_b32 s0, 0
	s_mov_b32 s5, -1
	v_add3_u32 v1, v0, v1, 0x7fff
	v_cndmask_b32_sdwa v1, v5, v1, vcc_lo dst_sel:DWORD dst_unused:UNUSED_PAD src0_sel:DWORD src1_sel:WORD_1
	global_store_dword v[7:8], v1, off
.LBB17_1587:
	s_and_b32 vcc_lo, exec_lo, s10
	s_cbranch_vccz .LBB17_1592
; %bb.1588:
	s_cmp_eq_u32 s1, 44
	s_mov_b32 s0, -1
	s_cbranch_scc0 .LBB17_1592
; %bb.1589:
	v_bfe_u32 v5, v0, 23, 8
	v_mov_b32_e32 v1, 0xff
	s_mov_b32 s5, exec_lo
	v_cmpx_ne_u32_e32 0xff, v5
	s_cbranch_execz .LBB17_1591
; %bb.1590:
	v_and_b32_e32 v1, 0x400000, v0
	v_and_or_b32 v5, 0x3fffff, v0, v5
	v_cmp_ne_u32_e32 vcc_lo, 0, v1
	v_cmp_ne_u32_e64 s0, 0, v5
	v_lshrrev_b32_e32 v1, 23, v0
	s_and_b32 s0, vcc_lo, s0
	v_cndmask_b32_e64 v5, 0, 1, s0
	v_add_nc_u32_e32 v1, v1, v5
.LBB17_1591:
	s_or_b32 exec_lo, exec_lo, s5
	s_mov_b32 s0, 0
	s_mov_b32 s5, -1
	global_store_byte v[7:8], v1, off
.LBB17_1592:
	s_mov_b32 s10, 0
.LBB17_1593:
	s_and_b32 vcc_lo, exec_lo, s10
	s_cbranch_vccz .LBB17_1596
; %bb.1594:
	s_cmp_eq_u32 s1, 29
	s_mov_b32 s0, -1
	s_cbranch_scc0 .LBB17_1596
; %bb.1595:
	v_trunc_f32_e32 v1, v0
	s_mov_b32 s0, 0
	s_mov_b32 s5, -1
	v_mul_f32_e32 v5, 0x2f800000, v1
	v_floor_f32_e32 v5, v5
	v_fmamk_f32 v1, v5, 0xcf800000, v1
	v_cvt_u32_f32_e32 v10, v5
	v_cvt_u32_f32_e32 v9, v1
	global_store_dwordx2 v[7:8], v[9:10], off
.LBB17_1596:
	s_mov_b32 s10, 0
.LBB17_1597:
	s_and_b32 vcc_lo, exec_lo, s10
	s_cbranch_vccz .LBB17_1613
; %bb.1598:
	s_cmp_lt_i32 s1, 27
	s_mov_b32 s5, -1
	s_cbranch_scc1 .LBB17_1604
; %bb.1599:
	v_cvt_u32_f32_e32 v1, v0
	s_cmp_gt_i32 s1, 27
	s_cbranch_scc0 .LBB17_1601
; %bb.1600:
	s_mov_b32 s5, 0
	global_store_dword v[7:8], v1, off
.LBB17_1601:
	s_andn2_b32 vcc_lo, exec_lo, s5
	s_cbranch_vccnz .LBB17_1603
; %bb.1602:
	global_store_short v[7:8], v1, off
.LBB17_1603:
	s_mov_b32 s5, 0
.LBB17_1604:
	s_andn2_b32 vcc_lo, exec_lo, s5
	s_cbranch_vccnz .LBB17_1612
; %bb.1605:
	v_and_b32_e32 v1, 0x7fffffff, v0
	v_mov_b32_e32 v5, 0x80
	s_mov_b32 s5, exec_lo
	v_cmpx_gt_u32_e32 0x43800000, v1
	s_cbranch_execz .LBB17_1611
; %bb.1606:
	v_cmp_lt_u32_e32 vcc_lo, 0x3bffffff, v1
	s_mov_b32 s10, 0
                                        ; implicit-def: $vgpr1
	s_and_saveexec_b32 s11, vcc_lo
	s_xor_b32 s11, exec_lo, s11
	s_cbranch_execz .LBB17_2061
; %bb.1607:
	v_bfe_u32 v1, v0, 20, 1
	s_mov_b32 s10, exec_lo
	v_add3_u32 v1, v0, v1, 0x487ffff
	v_lshrrev_b32_e32 v1, 20, v1
	s_andn2_saveexec_b32 s11, s11
	s_cbranch_execnz .LBB17_2062
.LBB17_1608:
	s_or_b32 exec_lo, exec_lo, s11
	v_mov_b32_e32 v5, 0
	s_and_saveexec_b32 s11, s10
.LBB17_1609:
	v_lshrrev_b32_e32 v5, 24, v0
	v_and_or_b32 v5, 0x80, v5, v1
.LBB17_1610:
	s_or_b32 exec_lo, exec_lo, s11
.LBB17_1611:
	s_or_b32 exec_lo, exec_lo, s5
	global_store_byte v[7:8], v5, off
.LBB17_1612:
	s_mov_b32 s5, -1
.LBB17_1613:
	s_mov_b32 s10, 0
.LBB17_1614:
	s_and_b32 vcc_lo, exec_lo, s10
	s_cbranch_vccz .LBB17_1654
; %bb.1615:
	s_cmp_gt_i32 s1, 22
	s_mov_b32 s3, -1
	s_cbranch_scc0 .LBB17_1647
; %bb.1616:
	s_cmp_lt_i32 s1, 24
	s_cbranch_scc1 .LBB17_1636
; %bb.1617:
	s_cmp_gt_i32 s1, 24
	s_cbranch_scc0 .LBB17_1625
; %bb.1618:
	v_and_b32_e32 v1, 0x7fffffff, v0
	v_mov_b32_e32 v5, 0x80
	s_mov_b32 s3, exec_lo
	v_cmpx_gt_u32_e32 0x47800000, v1
	s_cbranch_execz .LBB17_1624
; %bb.1619:
	v_cmp_lt_u32_e32 vcc_lo, 0x37ffffff, v1
	s_mov_b32 s5, 0
                                        ; implicit-def: $vgpr1
	s_and_saveexec_b32 s10, vcc_lo
	s_xor_b32 s10, exec_lo, s10
	s_cbranch_execz .LBB17_2064
; %bb.1620:
	v_bfe_u32 v1, v0, 21, 1
	s_mov_b32 s5, exec_lo
	v_add3_u32 v1, v0, v1, 0x88fffff
	v_lshrrev_b32_e32 v1, 21, v1
	s_andn2_saveexec_b32 s10, s10
	s_cbranch_execnz .LBB17_2065
.LBB17_1621:
	s_or_b32 exec_lo, exec_lo, s10
	v_mov_b32_e32 v5, 0
	s_and_saveexec_b32 s10, s5
.LBB17_1622:
	v_lshrrev_b32_e32 v5, 24, v0
	v_and_or_b32 v5, 0x80, v5, v1
.LBB17_1623:
	s_or_b32 exec_lo, exec_lo, s10
.LBB17_1624:
	s_or_b32 exec_lo, exec_lo, s3
	s_mov_b32 s3, 0
	global_store_byte v[7:8], v5, off
.LBB17_1625:
	s_and_b32 vcc_lo, exec_lo, s3
	s_cbranch_vccz .LBB17_1635
; %bb.1626:
	v_and_b32_e32 v5, 0x7fffffff, v0
	s_mov_b32 s3, exec_lo
                                        ; implicit-def: $vgpr1
	v_cmpx_gt_u32_e32 0x43f00000, v5
	s_xor_b32 s3, exec_lo, s3
	s_cbranch_execz .LBB17_1632
; %bb.1627:
	s_mov_b32 s5, exec_lo
                                        ; implicit-def: $vgpr1
	v_cmpx_lt_u32_e32 0x3c7fffff, v5
	s_xor_b32 s5, exec_lo, s5
; %bb.1628:
	v_bfe_u32 v1, v0, 20, 1
	v_add3_u32 v1, v0, v1, 0x407ffff
	v_and_b32_e32 v5, 0xff00000, v1
	v_lshrrev_b32_e32 v1, 20, v1
	v_cmp_ne_u32_e32 vcc_lo, 0x7f00000, v5
	v_cndmask_b32_e32 v1, 0x7e, v1, vcc_lo
; %bb.1629:
	s_andn2_saveexec_b32 s5, s5
; %bb.1630:
	v_add_f32_e64 v1, 0x46800000, |v0|
; %bb.1631:
	s_or_b32 exec_lo, exec_lo, s5
                                        ; implicit-def: $vgpr5
.LBB17_1632:
	s_andn2_saveexec_b32 s3, s3
; %bb.1633:
	v_mov_b32_e32 v1, 0x7f
	v_cmp_lt_u32_e32 vcc_lo, 0x7f800000, v5
	v_cndmask_b32_e32 v1, 0x7e, v1, vcc_lo
; %bb.1634:
	s_or_b32 exec_lo, exec_lo, s3
	v_lshrrev_b32_e32 v5, 24, v0
	v_and_or_b32 v1, 0x80, v5, v1
	global_store_byte v[7:8], v1, off
.LBB17_1635:
	s_mov_b32 s3, 0
.LBB17_1636:
	s_andn2_b32 vcc_lo, exec_lo, s3
	s_cbranch_vccnz .LBB17_1646
; %bb.1637:
	v_and_b32_e32 v5, 0x7fffffff, v0
	s_mov_b32 s3, exec_lo
                                        ; implicit-def: $vgpr1
	v_cmpx_gt_u32_e32 0x47800000, v5
	s_xor_b32 s3, exec_lo, s3
	s_cbranch_execz .LBB17_1643
; %bb.1638:
	s_mov_b32 s5, exec_lo
                                        ; implicit-def: $vgpr1
	v_cmpx_lt_u32_e32 0x387fffff, v5
	s_xor_b32 s5, exec_lo, s5
; %bb.1639:
	v_bfe_u32 v1, v0, 21, 1
	v_add3_u32 v1, v0, v1, 0x80fffff
	v_lshrrev_b32_e32 v1, 21, v1
; %bb.1640:
	s_andn2_saveexec_b32 s5, s5
; %bb.1641:
	v_add_f32_e64 v1, 0x43000000, |v0|
; %bb.1642:
	s_or_b32 exec_lo, exec_lo, s5
                                        ; implicit-def: $vgpr5
.LBB17_1643:
	s_andn2_saveexec_b32 s3, s3
; %bb.1644:
	v_mov_b32_e32 v1, 0x7f
	v_cmp_lt_u32_e32 vcc_lo, 0x7f800000, v5
	v_cndmask_b32_e32 v1, 0x7c, v1, vcc_lo
; %bb.1645:
	s_or_b32 exec_lo, exec_lo, s3
	v_lshrrev_b32_e32 v5, 24, v0
	v_and_or_b32 v1, 0x80, v5, v1
	global_store_byte v[7:8], v1, off
.LBB17_1646:
	s_mov_b32 s3, 0
	s_mov_b32 s5, -1
.LBB17_1647:
	s_andn2_b32 vcc_lo, exec_lo, s3
	s_mov_b32 s3, 0
	s_cbranch_vccnz .LBB17_1654
; %bb.1648:
	s_cmp_gt_i32 s1, 14
	s_mov_b32 s3, -1
	s_cbranch_scc0 .LBB17_1652
; %bb.1649:
	s_cmp_eq_u32 s1, 15
	s_mov_b32 s0, -1
	s_cbranch_scc0 .LBB17_1651
; %bb.1650:
	v_bfe_u32 v1, v0, 16, 1
	v_cmp_o_f32_e32 vcc_lo, v0, v0
	v_mov_b32_e32 v5, 0x7fc0
	s_mov_b32 s0, 0
	s_mov_b32 s5, -1
	v_add3_u32 v1, v0, v1, 0x7fff
	v_cndmask_b32_sdwa v1, v5, v1, vcc_lo dst_sel:DWORD dst_unused:UNUSED_PAD src0_sel:DWORD src1_sel:WORD_1
	global_store_short v[7:8], v1, off
.LBB17_1651:
	s_mov_b32 s3, 0
.LBB17_1652:
	s_and_b32 vcc_lo, exec_lo, s3
	s_mov_b32 s3, 0
	s_cbranch_vccz .LBB17_1654
; %bb.1653:
	s_cmp_lg_u32 s1, 11
	s_mov_b32 s3, -1
	s_cselect_b32 s0, -1, 0
.LBB17_1654:
	s_and_b32 vcc_lo, exec_lo, s0
	s_cbranch_vccnz .LBB17_2063
; %bb.1655:
	s_andn2_b32 vcc_lo, exec_lo, s3
	s_cbranch_vccnz .LBB17_1657
.LBB17_1656:
	v_cmp_neq_f32_e32 vcc_lo, 0, v0
	s_mov_b32 s5, -1
	v_cndmask_b32_e64 v1, 0, 1, vcc_lo
	global_store_byte v[7:8], v1, off
.LBB17_1657:
	s_mov_b32 s0, 0
	s_branch .LBB17_1704
.LBB17_1658:
	s_mov_b32 s0, 0
	s_mov_b32 s2, 0
                                        ; implicit-def: $sgpr12
                                        ; implicit-def: $vgpr0_vgpr1
                                        ; implicit-def: $vgpr6
.LBB17_1659:
	s_andn2_b32 s1, s7, exec_lo
	s_and_b32 s3, s4, exec_lo
	s_and_b32 s0, s0, exec_lo
	;; [unrolled: 1-line block ×3, first 2 shown]
	s_or_b32 s7, s1, s3
.LBB17_1660:
	s_or_b32 exec_lo, exec_lo, s6
	s_and_saveexec_b32 s1, s7
	s_cbranch_execz .LBB17_1663
; %bb.1661:
	; divergent unreachable
	s_or_b32 exec_lo, exec_lo, s1
	s_and_saveexec_b32 s1, s4
	s_xor_b32 s1, exec_lo, s1
	s_cbranch_execnz .LBB17_1664
.LBB17_1662:
	s_or_b32 exec_lo, exec_lo, s1
	s_and_saveexec_b32 s1, s0
	s_cbranch_execnz .LBB17_1665
	s_branch .LBB17_1702
.LBB17_1663:
	s_or_b32 exec_lo, exec_lo, s1
	s_and_saveexec_b32 s1, s4
	s_xor_b32 s1, exec_lo, s1
	s_cbranch_execz .LBB17_1662
.LBB17_1664:
	v_cmp_neq_f32_e32 vcc_lo, 0, v6
	s_waitcnt vmcnt(0)
	v_cndmask_b32_e64 v2, 0, 1, vcc_lo
	global_store_byte v[0:1], v2, off
	s_or_b32 exec_lo, exec_lo, s1
	s_and_saveexec_b32 s1, s0
	s_cbranch_execz .LBB17_1702
.LBB17_1665:
	s_sext_i32_i16 s1, s12
	s_mov_b32 s0, -1
	s_cmp_lt_i32 s1, 5
	s_cbranch_scc1 .LBB17_1686
; %bb.1666:
	s_cmp_lt_i32 s1, 8
	s_cbranch_scc1 .LBB17_1676
; %bb.1667:
	;; [unrolled: 3-line block ×3, first 2 shown]
	s_cmp_gt_i32 s1, 9
	s_cbranch_scc0 .LBB17_1670
; %bb.1669:
	s_waitcnt vmcnt(0)
	v_cvt_f64_f32_e32 v[2:3], v6
	v_mov_b32_e32 v4, 0
	s_mov_b32 s0, 0
	v_mov_b32_e32 v5, v4
	global_store_dwordx4 v[0:1], v[2:5], off
.LBB17_1670:
	s_andn2_b32 vcc_lo, exec_lo, s0
	s_cbranch_vccnz .LBB17_1672
; %bb.1671:
	v_mov_b32_e32 v7, 0
	s_waitcnt vmcnt(0)
	global_store_dwordx2 v[0:1], v[6:7], off
.LBB17_1672:
	s_mov_b32 s0, 0
.LBB17_1673:
	s_andn2_b32 vcc_lo, exec_lo, s0
	s_cbranch_vccnz .LBB17_1675
; %bb.1674:
	s_waitcnt vmcnt(0)
	v_cvt_f16_f32_e32 v2, v6
	v_and_b32_e32 v2, 0xffff, v2
	global_store_dword v[0:1], v2, off
.LBB17_1675:
	s_mov_b32 s0, 0
.LBB17_1676:
	s_andn2_b32 vcc_lo, exec_lo, s0
	s_cbranch_vccnz .LBB17_1685
; %bb.1677:
	s_sext_i32_i16 s1, s12
	s_mov_b32 s0, -1
	s_cmp_lt_i32 s1, 6
	s_cbranch_scc1 .LBB17_1683
; %bb.1678:
	s_cmp_gt_i32 s1, 6
	s_cbranch_scc0 .LBB17_1680
; %bb.1679:
	s_waitcnt vmcnt(0)
	v_cvt_f64_f32_e32 v[2:3], v6
	s_mov_b32 s0, 0
	global_store_dwordx2 v[0:1], v[2:3], off
.LBB17_1680:
	s_andn2_b32 vcc_lo, exec_lo, s0
	s_cbranch_vccnz .LBB17_1682
; %bb.1681:
	s_waitcnt vmcnt(0)
	global_store_dword v[0:1], v6, off
.LBB17_1682:
	s_mov_b32 s0, 0
.LBB17_1683:
	s_andn2_b32 vcc_lo, exec_lo, s0
	s_cbranch_vccnz .LBB17_1685
; %bb.1684:
	s_waitcnt vmcnt(0)
	v_cvt_f16_f32_e32 v2, v6
	global_store_short v[0:1], v2, off
.LBB17_1685:
	s_mov_b32 s0, 0
.LBB17_1686:
	s_andn2_b32 vcc_lo, exec_lo, s0
	s_cbranch_vccnz .LBB17_1702
; %bb.1687:
	s_sext_i32_i16 s1, s12
	s_mov_b32 s0, -1
	s_cmp_lt_i32 s1, 2
	s_cbranch_scc1 .LBB17_1697
; %bb.1688:
	s_cmp_lt_i32 s1, 3
	s_cbranch_scc1 .LBB17_1694
; %bb.1689:
	s_cmp_gt_i32 s1, 3
	s_cbranch_scc0 .LBB17_1691
; %bb.1690:
	s_waitcnt vmcnt(0)
	v_trunc_f32_e32 v2, v6
	s_mov_b32 s0, 0
	v_mul_f32_e64 v3, 0x2f800000, |v2|
	v_ashrrev_i32_e32 v5, 31, v2
	v_floor_f32_e32 v3, v3
	v_fma_f32 v4, 0xcf800000, v3, |v2|
	v_cvt_u32_f32_e32 v3, v3
	v_cvt_u32_f32_e32 v2, v4
	v_xor_b32_e32 v3, v3, v5
	v_xor_b32_e32 v2, v2, v5
	v_sub_co_u32 v2, vcc_lo, v2, v5
	v_sub_co_ci_u32_e64 v3, null, v3, v5, vcc_lo
	global_store_dwordx2 v[0:1], v[2:3], off
.LBB17_1691:
	s_andn2_b32 vcc_lo, exec_lo, s0
	s_cbranch_vccnz .LBB17_1693
; %bb.1692:
	s_waitcnt vmcnt(0)
	v_cvt_i32_f32_e32 v2, v6
	global_store_dword v[0:1], v2, off
.LBB17_1693:
	s_mov_b32 s0, 0
.LBB17_1694:
	s_andn2_b32 vcc_lo, exec_lo, s0
	s_cbranch_vccnz .LBB17_1696
; %bb.1695:
	s_waitcnt vmcnt(0)
	v_cvt_i32_f32_e32 v2, v6
	global_store_short v[0:1], v2, off
.LBB17_1696:
	s_mov_b32 s0, 0
.LBB17_1697:
	s_andn2_b32 vcc_lo, exec_lo, s0
	s_cbranch_vccnz .LBB17_1702
; %bb.1698:
	s_sext_i32_i16 s0, s12
	s_cmp_gt_i32 s0, 0
	s_mov_b32 s0, -1
	s_cbranch_scc0 .LBB17_1700
; %bb.1699:
	s_waitcnt vmcnt(0)
	v_cvt_i32_f32_e32 v2, v6
	s_mov_b32 s0, 0
	global_store_byte v[0:1], v2, off
.LBB17_1700:
	s_andn2_b32 vcc_lo, exec_lo, s0
	s_cbranch_vccnz .LBB17_1702
; %bb.1701:
	s_waitcnt vmcnt(0)
	v_trunc_f32_e32 v2, v6
	v_mul_f32_e64 v3, 0x2f800000, |v2|
	v_floor_f32_e32 v3, v3
	v_fma_f32 v3, 0xcf800000, v3, |v2|
	v_ashrrev_i32_e32 v2, 31, v2
	v_cvt_u32_f32_e32 v3, v3
	v_xor_b32_e32 v3, v3, v2
	v_sub_nc_u32_e32 v2, v3, v2
	global_store_byte v[0:1], v2, off
	s_endpgm
.LBB17_1702:
	s_endpgm
.LBB17_1703:
	s_mov_b32 s0, -1
	s_mov_b32 s5, 0
.LBB17_1704:
	s_and_b32 vcc_lo, exec_lo, s0
	s_cbranch_vccz .LBB17_1743
; %bb.1705:
	s_and_b32 s0, 0xffff, s12
	s_mov_b32 s1, -1
	s_cmp_lt_i32 s0, 5
	s_cbranch_scc1 .LBB17_1726
; %bb.1706:
	s_cmp_lt_i32 s0, 8
	s_cbranch_scc1 .LBB17_1716
; %bb.1707:
	;; [unrolled: 3-line block ×3, first 2 shown]
	s_cmp_gt_i32 s0, 9
	s_cbranch_scc0 .LBB17_1710
; %bb.1709:
	v_cvt_f64_f32_e32 v[9:10], v0
	v_mov_b32_e32 v11, 0
	s_mov_b32 s1, 0
	v_mov_b32_e32 v12, v11
	global_store_dwordx4 v[7:8], v[9:12], off
.LBB17_1710:
	s_andn2_b32 vcc_lo, exec_lo, s1
	s_cbranch_vccnz .LBB17_1712
; %bb.1711:
	v_mov_b32_e32 v1, 0
	global_store_dwordx2 v[7:8], v[0:1], off
.LBB17_1712:
	s_mov_b32 s1, 0
.LBB17_1713:
	s_andn2_b32 vcc_lo, exec_lo, s1
	s_cbranch_vccnz .LBB17_1715
; %bb.1714:
	v_cvt_f16_f32_e32 v1, v0
	v_and_b32_e32 v1, 0xffff, v1
	global_store_dword v[7:8], v1, off
.LBB17_1715:
	s_mov_b32 s1, 0
.LBB17_1716:
	s_andn2_b32 vcc_lo, exec_lo, s1
	s_cbranch_vccnz .LBB17_1725
; %bb.1717:
	s_cmp_lt_i32 s0, 6
	s_mov_b32 s1, -1
	s_cbranch_scc1 .LBB17_1723
; %bb.1718:
	s_cmp_gt_i32 s0, 6
	s_cbranch_scc0 .LBB17_1720
; %bb.1719:
	v_cvt_f64_f32_e32 v[9:10], v0
	s_mov_b32 s1, 0
	global_store_dwordx2 v[7:8], v[9:10], off
.LBB17_1720:
	s_andn2_b32 vcc_lo, exec_lo, s1
	s_cbranch_vccnz .LBB17_1722
; %bb.1721:
	global_store_dword v[7:8], v0, off
.LBB17_1722:
	s_mov_b32 s1, 0
.LBB17_1723:
	s_andn2_b32 vcc_lo, exec_lo, s1
	s_cbranch_vccnz .LBB17_1725
; %bb.1724:
	v_cvt_f16_f32_e32 v1, v0
	global_store_short v[7:8], v1, off
.LBB17_1725:
	s_mov_b32 s1, 0
.LBB17_1726:
	s_andn2_b32 vcc_lo, exec_lo, s1
	s_cbranch_vccnz .LBB17_1742
; %bb.1727:
	s_cmp_lt_i32 s0, 2
	s_mov_b32 s1, -1
	s_cbranch_scc1 .LBB17_1737
; %bb.1728:
	s_cmp_lt_i32 s0, 3
	s_cbranch_scc1 .LBB17_1734
; %bb.1729:
	s_cmp_gt_i32 s0, 3
	s_cbranch_scc0 .LBB17_1731
; %bb.1730:
	v_trunc_f32_e32 v1, v0
	s_mov_b32 s1, 0
	v_mul_f32_e64 v5, 0x2f800000, |v1|
	v_floor_f32_e32 v5, v5
	v_fma_f32 v9, 0xcf800000, v5, |v1|
	v_ashrrev_i32_e32 v1, 31, v1
	v_cvt_u32_f32_e32 v5, v5
	v_cvt_u32_f32_e32 v9, v9
	v_xor_b32_e32 v5, v5, v1
	v_xor_b32_e32 v9, v9, v1
	v_sub_co_u32 v9, vcc_lo, v9, v1
	v_sub_co_ci_u32_e64 v10, null, v5, v1, vcc_lo
	global_store_dwordx2 v[7:8], v[9:10], off
.LBB17_1731:
	s_andn2_b32 vcc_lo, exec_lo, s1
	s_cbranch_vccnz .LBB17_1733
; %bb.1732:
	v_cvt_i32_f32_e32 v1, v0
	global_store_dword v[7:8], v1, off
.LBB17_1733:
	s_mov_b32 s1, 0
.LBB17_1734:
	s_andn2_b32 vcc_lo, exec_lo, s1
	s_cbranch_vccnz .LBB17_1736
; %bb.1735:
	v_cvt_i32_f32_e32 v1, v0
	global_store_short v[7:8], v1, off
.LBB17_1736:
	s_mov_b32 s1, 0
.LBB17_1737:
	s_andn2_b32 vcc_lo, exec_lo, s1
	s_cbranch_vccnz .LBB17_1742
; %bb.1738:
	s_cmp_gt_i32 s0, 0
	s_mov_b32 s0, -1
	s_cbranch_scc0 .LBB17_1740
; %bb.1739:
	v_cvt_i32_f32_e32 v1, v0
	s_mov_b32 s0, 0
	global_store_byte v[7:8], v1, off
.LBB17_1740:
	s_andn2_b32 vcc_lo, exec_lo, s0
	s_cbranch_vccnz .LBB17_1742
; %bb.1741:
	v_trunc_f32_e32 v0, v0
	v_mul_f32_e64 v1, 0x2f800000, |v0|
	v_floor_f32_e32 v1, v1
	v_fma_f32 v1, 0xcf800000, v1, |v0|
	v_ashrrev_i32_e32 v0, 31, v0
	v_cvt_u32_f32_e32 v1, v1
	v_xor_b32_e32 v1, v1, v0
	v_sub_nc_u32_e32 v0, v1, v0
	global_store_byte v[7:8], v0, off
.LBB17_1742:
	s_mov_b32 s5, -1
.LBB17_1743:
	s_andn2_b32 vcc_lo, exec_lo, s5
	s_cbranch_vccnz .LBB17_2058
; %bb.1744:
	s_lshl_b32 s1, s2, 7
	s_cmp_lt_i32 s12, 11
	v_add_nc_u32_e32 v5, s1, v3
	v_ashrrev_i32_e32 v1, 31, v5
	v_add_co_u32 v0, vcc_lo, s8, v5
	v_add_co_ci_u32_e64 v1, null, s9, v1, vcc_lo
	s_cbranch_scc1 .LBB17_1822
; %bb.1745:
	s_and_b32 s2, 0xffff, s12
	s_mov_b32 s10, -1
	s_mov_b32 s3, 0
	s_cmp_gt_i32 s2, 25
	s_mov_b32 s5, 0
	s_mov_b32 s0, 0
	s_cbranch_scc0 .LBB17_1778
; %bb.1746:
	s_cmp_gt_i32 s2, 28
	s_cbranch_scc0 .LBB17_1761
; %bb.1747:
	s_cmp_gt_i32 s2, 43
	;; [unrolled: 3-line block ×3, first 2 shown]
	s_cbranch_scc0 .LBB17_1751
; %bb.1749:
	s_mov_b32 s0, -1
	s_mov_b32 s10, 0
	s_cmp_eq_u32 s2, 46
	s_cbranch_scc0 .LBB17_1751
; %bb.1750:
	v_bfe_u32 v3, v2, 16, 1
	v_cmp_o_f32_e32 vcc_lo, v2, v2
	v_mov_b32_e32 v7, 0x7fc0
	s_mov_b32 s0, 0
	s_mov_b32 s5, -1
	v_add3_u32 v3, v2, v3, 0x7fff
	v_cndmask_b32_sdwa v3, v7, v3, vcc_lo dst_sel:DWORD dst_unused:UNUSED_PAD src0_sel:DWORD src1_sel:WORD_1
	global_store_dword v[0:1], v3, off
.LBB17_1751:
	s_and_b32 vcc_lo, exec_lo, s10
	s_cbranch_vccz .LBB17_1756
; %bb.1752:
	s_cmp_eq_u32 s2, 44
	s_mov_b32 s0, -1
	s_cbranch_scc0 .LBB17_1756
; %bb.1753:
	v_bfe_u32 v7, v2, 23, 8
	v_mov_b32_e32 v3, 0xff
	s_mov_b32 s5, exec_lo
	v_cmpx_ne_u32_e32 0xff, v7
	s_cbranch_execz .LBB17_1755
; %bb.1754:
	v_and_b32_e32 v3, 0x400000, v2
	v_and_or_b32 v7, 0x3fffff, v2, v7
	v_cmp_ne_u32_e32 vcc_lo, 0, v3
	v_cmp_ne_u32_e64 s0, 0, v7
	v_lshrrev_b32_e32 v3, 23, v2
	s_and_b32 s0, vcc_lo, s0
	v_cndmask_b32_e64 v7, 0, 1, s0
	v_add_nc_u32_e32 v3, v3, v7
.LBB17_1755:
	s_or_b32 exec_lo, exec_lo, s5
	s_mov_b32 s0, 0
	s_mov_b32 s5, -1
	global_store_byte v[0:1], v3, off
.LBB17_1756:
	s_mov_b32 s10, 0
.LBB17_1757:
	s_and_b32 vcc_lo, exec_lo, s10
	s_cbranch_vccz .LBB17_1760
; %bb.1758:
	s_cmp_eq_u32 s2, 29
	s_mov_b32 s0, -1
	s_cbranch_scc0 .LBB17_1760
; %bb.1759:
	v_trunc_f32_e32 v3, v2
	s_mov_b32 s0, 0
	s_mov_b32 s5, -1
	v_mul_f32_e32 v7, 0x2f800000, v3
	v_floor_f32_e32 v7, v7
	v_fmamk_f32 v3, v7, 0xcf800000, v3
	v_cvt_u32_f32_e32 v8, v7
	v_cvt_u32_f32_e32 v7, v3
	global_store_dwordx2 v[0:1], v[7:8], off
.LBB17_1760:
	s_mov_b32 s10, 0
.LBB17_1761:
	s_and_b32 vcc_lo, exec_lo, s10
	s_cbranch_vccz .LBB17_1777
; %bb.1762:
	s_cmp_lt_i32 s2, 27
	s_mov_b32 s5, -1
	s_cbranch_scc1 .LBB17_1768
; %bb.1763:
	v_cvt_u32_f32_e32 v3, v2
	s_cmp_gt_i32 s2, 27
	s_cbranch_scc0 .LBB17_1765
; %bb.1764:
	s_mov_b32 s5, 0
	global_store_dword v[0:1], v3, off
.LBB17_1765:
	s_andn2_b32 vcc_lo, exec_lo, s5
	s_cbranch_vccnz .LBB17_1767
; %bb.1766:
	global_store_short v[0:1], v3, off
.LBB17_1767:
	s_mov_b32 s5, 0
.LBB17_1768:
	s_andn2_b32 vcc_lo, exec_lo, s5
	s_cbranch_vccnz .LBB17_1776
; %bb.1769:
	v_and_b32_e32 v3, 0x7fffffff, v2
	v_mov_b32_e32 v7, 0x80
	s_mov_b32 s5, exec_lo
	v_cmpx_gt_u32_e32 0x43800000, v3
	s_cbranch_execz .LBB17_1775
; %bb.1770:
	v_cmp_lt_u32_e32 vcc_lo, 0x3bffffff, v3
	s_mov_b32 s10, 0
                                        ; implicit-def: $vgpr3
	s_and_saveexec_b32 s11, vcc_lo
	s_xor_b32 s11, exec_lo, s11
	s_cbranch_execz .LBB17_2066
; %bb.1771:
	v_bfe_u32 v3, v2, 20, 1
	s_mov_b32 s10, exec_lo
	v_add3_u32 v3, v2, v3, 0x487ffff
	v_lshrrev_b32_e32 v3, 20, v3
	s_andn2_saveexec_b32 s11, s11
	s_cbranch_execnz .LBB17_2067
.LBB17_1772:
	s_or_b32 exec_lo, exec_lo, s11
	v_mov_b32_e32 v7, 0
	s_and_saveexec_b32 s11, s10
.LBB17_1773:
	v_lshrrev_b32_e32 v7, 24, v2
	v_and_or_b32 v7, 0x80, v7, v3
.LBB17_1774:
	s_or_b32 exec_lo, exec_lo, s11
.LBB17_1775:
	s_or_b32 exec_lo, exec_lo, s5
	global_store_byte v[0:1], v7, off
.LBB17_1776:
	s_mov_b32 s5, -1
.LBB17_1777:
	s_mov_b32 s10, 0
.LBB17_1778:
	s_and_b32 vcc_lo, exec_lo, s10
	s_cbranch_vccz .LBB17_1818
; %bb.1779:
	s_cmp_gt_i32 s2, 22
	s_mov_b32 s3, -1
	s_cbranch_scc0 .LBB17_1811
; %bb.1780:
	s_cmp_lt_i32 s2, 24
	s_cbranch_scc1 .LBB17_1800
; %bb.1781:
	s_cmp_gt_i32 s2, 24
	s_cbranch_scc0 .LBB17_1789
; %bb.1782:
	v_and_b32_e32 v3, 0x7fffffff, v2
	v_mov_b32_e32 v7, 0x80
	s_mov_b32 s3, exec_lo
	v_cmpx_gt_u32_e32 0x47800000, v3
	s_cbranch_execz .LBB17_1788
; %bb.1783:
	v_cmp_lt_u32_e32 vcc_lo, 0x37ffffff, v3
	s_mov_b32 s5, 0
                                        ; implicit-def: $vgpr3
	s_and_saveexec_b32 s10, vcc_lo
	s_xor_b32 s10, exec_lo, s10
	s_cbranch_execz .LBB17_2069
; %bb.1784:
	v_bfe_u32 v3, v2, 21, 1
	s_mov_b32 s5, exec_lo
	v_add3_u32 v3, v2, v3, 0x88fffff
	v_lshrrev_b32_e32 v3, 21, v3
	s_andn2_saveexec_b32 s10, s10
	s_cbranch_execnz .LBB17_2070
.LBB17_1785:
	s_or_b32 exec_lo, exec_lo, s10
	v_mov_b32_e32 v7, 0
	s_and_saveexec_b32 s10, s5
.LBB17_1786:
	v_lshrrev_b32_e32 v7, 24, v2
	v_and_or_b32 v7, 0x80, v7, v3
.LBB17_1787:
	s_or_b32 exec_lo, exec_lo, s10
.LBB17_1788:
	s_or_b32 exec_lo, exec_lo, s3
	s_mov_b32 s3, 0
	global_store_byte v[0:1], v7, off
.LBB17_1789:
	s_and_b32 vcc_lo, exec_lo, s3
	s_cbranch_vccz .LBB17_1799
; %bb.1790:
	v_and_b32_e32 v7, 0x7fffffff, v2
	s_mov_b32 s3, exec_lo
                                        ; implicit-def: $vgpr3
	v_cmpx_gt_u32_e32 0x43f00000, v7
	s_xor_b32 s3, exec_lo, s3
	s_cbranch_execz .LBB17_1796
; %bb.1791:
	s_mov_b32 s5, exec_lo
                                        ; implicit-def: $vgpr3
	v_cmpx_lt_u32_e32 0x3c7fffff, v7
	s_xor_b32 s5, exec_lo, s5
; %bb.1792:
	v_bfe_u32 v3, v2, 20, 1
	v_add3_u32 v3, v2, v3, 0x407ffff
	v_and_b32_e32 v7, 0xff00000, v3
	v_lshrrev_b32_e32 v3, 20, v3
	v_cmp_ne_u32_e32 vcc_lo, 0x7f00000, v7
	v_cndmask_b32_e32 v3, 0x7e, v3, vcc_lo
; %bb.1793:
	s_andn2_saveexec_b32 s5, s5
; %bb.1794:
	v_add_f32_e64 v3, 0x46800000, |v2|
; %bb.1795:
	s_or_b32 exec_lo, exec_lo, s5
                                        ; implicit-def: $vgpr7
.LBB17_1796:
	s_andn2_saveexec_b32 s3, s3
; %bb.1797:
	v_mov_b32_e32 v3, 0x7f
	v_cmp_lt_u32_e32 vcc_lo, 0x7f800000, v7
	v_cndmask_b32_e32 v3, 0x7e, v3, vcc_lo
; %bb.1798:
	s_or_b32 exec_lo, exec_lo, s3
	v_lshrrev_b32_e32 v7, 24, v2
	v_and_or_b32 v3, 0x80, v7, v3
	global_store_byte v[0:1], v3, off
.LBB17_1799:
	s_mov_b32 s3, 0
.LBB17_1800:
	s_andn2_b32 vcc_lo, exec_lo, s3
	s_cbranch_vccnz .LBB17_1810
; %bb.1801:
	v_and_b32_e32 v7, 0x7fffffff, v2
	s_mov_b32 s3, exec_lo
                                        ; implicit-def: $vgpr3
	v_cmpx_gt_u32_e32 0x47800000, v7
	s_xor_b32 s3, exec_lo, s3
	s_cbranch_execz .LBB17_1807
; %bb.1802:
	s_mov_b32 s5, exec_lo
                                        ; implicit-def: $vgpr3
	v_cmpx_lt_u32_e32 0x387fffff, v7
	s_xor_b32 s5, exec_lo, s5
; %bb.1803:
	v_bfe_u32 v3, v2, 21, 1
	v_add3_u32 v3, v2, v3, 0x80fffff
	v_lshrrev_b32_e32 v3, 21, v3
; %bb.1804:
	s_andn2_saveexec_b32 s5, s5
; %bb.1805:
	v_add_f32_e64 v3, 0x43000000, |v2|
; %bb.1806:
	s_or_b32 exec_lo, exec_lo, s5
                                        ; implicit-def: $vgpr7
.LBB17_1807:
	s_andn2_saveexec_b32 s3, s3
; %bb.1808:
	v_mov_b32_e32 v3, 0x7f
	v_cmp_lt_u32_e32 vcc_lo, 0x7f800000, v7
	v_cndmask_b32_e32 v3, 0x7c, v3, vcc_lo
; %bb.1809:
	s_or_b32 exec_lo, exec_lo, s3
	v_lshrrev_b32_e32 v7, 24, v2
	v_and_or_b32 v3, 0x80, v7, v3
	global_store_byte v[0:1], v3, off
.LBB17_1810:
	s_mov_b32 s3, 0
	s_mov_b32 s5, -1
.LBB17_1811:
	s_andn2_b32 vcc_lo, exec_lo, s3
	s_mov_b32 s3, 0
	s_cbranch_vccnz .LBB17_1818
; %bb.1812:
	s_cmp_gt_i32 s2, 14
	s_mov_b32 s3, -1
	s_cbranch_scc0 .LBB17_1816
; %bb.1813:
	s_cmp_eq_u32 s2, 15
	s_mov_b32 s0, -1
	s_cbranch_scc0 .LBB17_1815
; %bb.1814:
	v_bfe_u32 v3, v2, 16, 1
	v_cmp_o_f32_e32 vcc_lo, v2, v2
	v_mov_b32_e32 v7, 0x7fc0
	s_mov_b32 s0, 0
	s_mov_b32 s5, -1
	v_add3_u32 v3, v2, v3, 0x7fff
	v_cndmask_b32_sdwa v3, v7, v3, vcc_lo dst_sel:DWORD dst_unused:UNUSED_PAD src0_sel:DWORD src1_sel:WORD_1
	global_store_short v[0:1], v3, off
.LBB17_1815:
	s_mov_b32 s3, 0
.LBB17_1816:
	s_and_b32 vcc_lo, exec_lo, s3
	s_mov_b32 s3, 0
	s_cbranch_vccz .LBB17_1818
; %bb.1817:
	s_cmp_lg_u32 s2, 11
	s_mov_b32 s3, -1
	s_cselect_b32 s0, -1, 0
.LBB17_1818:
	s_and_b32 vcc_lo, exec_lo, s0
	s_cbranch_vccnz .LBB17_2068
; %bb.1819:
	s_andn2_b32 vcc_lo, exec_lo, s3
	s_cbranch_vccnz .LBB17_1821
.LBB17_1820:
	v_cmp_neq_f32_e32 vcc_lo, 0, v2
	s_mov_b32 s5, -1
	v_cndmask_b32_e64 v3, 0, 1, vcc_lo
	global_store_byte v[0:1], v3, off
.LBB17_1821:
	s_mov_b32 s0, 0
	s_branch .LBB17_1823
.LBB17_1822:
	s_mov_b32 s0, -1
	s_mov_b32 s5, 0
.LBB17_1823:
	s_and_b32 vcc_lo, exec_lo, s0
	s_cbranch_vccz .LBB17_1862
; %bb.1824:
	s_and_b32 s0, 0xffff, s12
	s_mov_b32 s2, -1
	s_cmp_lt_i32 s0, 5
	s_cbranch_scc1 .LBB17_1845
; %bb.1825:
	s_cmp_lt_i32 s0, 8
	s_cbranch_scc1 .LBB17_1835
; %bb.1826:
	;; [unrolled: 3-line block ×3, first 2 shown]
	s_cmp_gt_i32 s0, 9
	s_cbranch_scc0 .LBB17_1829
; %bb.1828:
	v_cvt_f64_f32_e32 v[7:8], v2
	v_mov_b32_e32 v9, 0
	s_mov_b32 s2, 0
	v_mov_b32_e32 v10, v9
	global_store_dwordx4 v[0:1], v[7:10], off
.LBB17_1829:
	s_andn2_b32 vcc_lo, exec_lo, s2
	s_cbranch_vccnz .LBB17_1831
; %bb.1830:
	v_mov_b32_e32 v3, 0
	global_store_dwordx2 v[0:1], v[2:3], off
.LBB17_1831:
	s_mov_b32 s2, 0
.LBB17_1832:
	s_andn2_b32 vcc_lo, exec_lo, s2
	s_cbranch_vccnz .LBB17_1834
; %bb.1833:
	v_cvt_f16_f32_e32 v3, v2
	v_and_b32_e32 v3, 0xffff, v3
	global_store_dword v[0:1], v3, off
.LBB17_1834:
	s_mov_b32 s2, 0
.LBB17_1835:
	s_andn2_b32 vcc_lo, exec_lo, s2
	s_cbranch_vccnz .LBB17_1844
; %bb.1836:
	s_cmp_lt_i32 s0, 6
	s_mov_b32 s2, -1
	s_cbranch_scc1 .LBB17_1842
; %bb.1837:
	s_cmp_gt_i32 s0, 6
	s_cbranch_scc0 .LBB17_1839
; %bb.1838:
	v_cvt_f64_f32_e32 v[7:8], v2
	s_mov_b32 s2, 0
	global_store_dwordx2 v[0:1], v[7:8], off
.LBB17_1839:
	s_andn2_b32 vcc_lo, exec_lo, s2
	s_cbranch_vccnz .LBB17_1841
; %bb.1840:
	global_store_dword v[0:1], v2, off
.LBB17_1841:
	s_mov_b32 s2, 0
.LBB17_1842:
	s_andn2_b32 vcc_lo, exec_lo, s2
	s_cbranch_vccnz .LBB17_1844
; %bb.1843:
	v_cvt_f16_f32_e32 v3, v2
	global_store_short v[0:1], v3, off
.LBB17_1844:
	s_mov_b32 s2, 0
.LBB17_1845:
	s_andn2_b32 vcc_lo, exec_lo, s2
	s_cbranch_vccnz .LBB17_1861
; %bb.1846:
	s_cmp_lt_i32 s0, 2
	s_mov_b32 s2, -1
	s_cbranch_scc1 .LBB17_1856
; %bb.1847:
	s_cmp_lt_i32 s0, 3
	s_cbranch_scc1 .LBB17_1853
; %bb.1848:
	s_cmp_gt_i32 s0, 3
	s_cbranch_scc0 .LBB17_1850
; %bb.1849:
	v_trunc_f32_e32 v3, v2
	s_mov_b32 s2, 0
	v_mul_f32_e64 v7, 0x2f800000, |v3|
	v_floor_f32_e32 v7, v7
	v_fma_f32 v8, 0xcf800000, v7, |v3|
	v_ashrrev_i32_e32 v3, 31, v3
	v_cvt_u32_f32_e32 v7, v7
	v_cvt_u32_f32_e32 v8, v8
	v_xor_b32_e32 v9, v7, v3
	v_xor_b32_e32 v8, v8, v3
	v_sub_co_u32 v7, vcc_lo, v8, v3
	v_sub_co_ci_u32_e64 v8, null, v9, v3, vcc_lo
	global_store_dwordx2 v[0:1], v[7:8], off
.LBB17_1850:
	s_andn2_b32 vcc_lo, exec_lo, s2
	s_cbranch_vccnz .LBB17_1852
; %bb.1851:
	v_cvt_i32_f32_e32 v3, v2
	global_store_dword v[0:1], v3, off
.LBB17_1852:
	s_mov_b32 s2, 0
.LBB17_1853:
	s_andn2_b32 vcc_lo, exec_lo, s2
	s_cbranch_vccnz .LBB17_1855
; %bb.1854:
	v_cvt_i32_f32_e32 v3, v2
	global_store_short v[0:1], v3, off
.LBB17_1855:
	s_mov_b32 s2, 0
.LBB17_1856:
	s_andn2_b32 vcc_lo, exec_lo, s2
	s_cbranch_vccnz .LBB17_1861
; %bb.1857:
	s_cmp_gt_i32 s0, 0
	s_mov_b32 s0, -1
	s_cbranch_scc0 .LBB17_1859
; %bb.1858:
	v_cvt_i32_f32_e32 v3, v2
	s_mov_b32 s0, 0
	global_store_byte v[0:1], v3, off
.LBB17_1859:
	s_andn2_b32 vcc_lo, exec_lo, s0
	s_cbranch_vccnz .LBB17_1861
; %bb.1860:
	v_trunc_f32_e32 v2, v2
	v_mul_f32_e64 v3, 0x2f800000, |v2|
	v_floor_f32_e32 v3, v3
	v_fma_f32 v3, 0xcf800000, v3, |v2|
	v_ashrrev_i32_e32 v2, 31, v2
	v_cvt_u32_f32_e32 v3, v3
	v_xor_b32_e32 v3, v3, v2
	v_sub_nc_u32_e32 v2, v3, v2
	global_store_byte v[0:1], v2, off
.LBB17_1861:
	s_mov_b32 s5, -1
.LBB17_1862:
	s_andn2_b32 vcc_lo, exec_lo, s5
	s_cbranch_vccnz .LBB17_2058
; %bb.1863:
	v_add_nc_u32_e32 v2, s1, v5
	s_cmp_lt_i32 s12, 11
	v_ashrrev_i32_e32 v1, 31, v2
	v_add_co_u32 v0, vcc_lo, s8, v2
	v_add_co_ci_u32_e64 v1, null, s9, v1, vcc_lo
	s_cbranch_scc1 .LBB17_1941
; %bb.1864:
	s_and_b32 s2, 0xffff, s12
	s_mov_b32 s10, -1
	s_mov_b32 s3, 0
	s_cmp_gt_i32 s2, 25
	s_mov_b32 s5, 0
	s_mov_b32 s0, 0
	s_cbranch_scc0 .LBB17_1897
; %bb.1865:
	s_cmp_gt_i32 s2, 28
	s_cbranch_scc0 .LBB17_1880
; %bb.1866:
	s_cmp_gt_i32 s2, 43
	;; [unrolled: 3-line block ×3, first 2 shown]
	s_cbranch_scc0 .LBB17_1870
; %bb.1868:
	s_mov_b32 s0, -1
	s_mov_b32 s10, 0
	s_cmp_eq_u32 s2, 46
	s_cbranch_scc0 .LBB17_1870
; %bb.1869:
	v_bfe_u32 v3, v4, 16, 1
	v_cmp_o_f32_e32 vcc_lo, v4, v4
	v_mov_b32_e32 v5, 0x7fc0
	s_mov_b32 s0, 0
	s_mov_b32 s5, -1
	v_add3_u32 v3, v4, v3, 0x7fff
	v_cndmask_b32_sdwa v3, v5, v3, vcc_lo dst_sel:DWORD dst_unused:UNUSED_PAD src0_sel:DWORD src1_sel:WORD_1
	global_store_dword v[0:1], v3, off
.LBB17_1870:
	s_and_b32 vcc_lo, exec_lo, s10
	s_cbranch_vccz .LBB17_1875
; %bb.1871:
	s_cmp_eq_u32 s2, 44
	s_mov_b32 s0, -1
	s_cbranch_scc0 .LBB17_1875
; %bb.1872:
	v_bfe_u32 v5, v4, 23, 8
	v_mov_b32_e32 v3, 0xff
	s_mov_b32 s5, exec_lo
	v_cmpx_ne_u32_e32 0xff, v5
	s_cbranch_execz .LBB17_1874
; %bb.1873:
	v_and_b32_e32 v3, 0x400000, v4
	v_and_or_b32 v5, 0x3fffff, v4, v5
	v_cmp_ne_u32_e32 vcc_lo, 0, v3
	v_cmp_ne_u32_e64 s0, 0, v5
	v_lshrrev_b32_e32 v3, 23, v4
	s_and_b32 s0, vcc_lo, s0
	v_cndmask_b32_e64 v5, 0, 1, s0
	v_add_nc_u32_e32 v3, v3, v5
.LBB17_1874:
	s_or_b32 exec_lo, exec_lo, s5
	s_mov_b32 s0, 0
	s_mov_b32 s5, -1
	global_store_byte v[0:1], v3, off
.LBB17_1875:
	s_mov_b32 s10, 0
.LBB17_1876:
	s_and_b32 vcc_lo, exec_lo, s10
	s_cbranch_vccz .LBB17_1879
; %bb.1877:
	s_cmp_eq_u32 s2, 29
	s_mov_b32 s0, -1
	s_cbranch_scc0 .LBB17_1879
; %bb.1878:
	v_trunc_f32_e32 v3, v4
	s_mov_b32 s0, 0
	s_mov_b32 s5, -1
	v_mul_f32_e32 v5, 0x2f800000, v3
	v_floor_f32_e32 v5, v5
	v_fmamk_f32 v3, v5, 0xcf800000, v3
	v_cvt_u32_f32_e32 v8, v5
	v_cvt_u32_f32_e32 v7, v3
	global_store_dwordx2 v[0:1], v[7:8], off
.LBB17_1879:
	s_mov_b32 s10, 0
.LBB17_1880:
	s_and_b32 vcc_lo, exec_lo, s10
	s_cbranch_vccz .LBB17_1896
; %bb.1881:
	s_cmp_lt_i32 s2, 27
	s_mov_b32 s5, -1
	s_cbranch_scc1 .LBB17_1887
; %bb.1882:
	v_cvt_u32_f32_e32 v3, v4
	s_cmp_gt_i32 s2, 27
	s_cbranch_scc0 .LBB17_1884
; %bb.1883:
	s_mov_b32 s5, 0
	global_store_dword v[0:1], v3, off
.LBB17_1884:
	s_andn2_b32 vcc_lo, exec_lo, s5
	s_cbranch_vccnz .LBB17_1886
; %bb.1885:
	global_store_short v[0:1], v3, off
.LBB17_1886:
	s_mov_b32 s5, 0
.LBB17_1887:
	s_andn2_b32 vcc_lo, exec_lo, s5
	s_cbranch_vccnz .LBB17_1895
; %bb.1888:
	v_and_b32_e32 v3, 0x7fffffff, v4
	v_mov_b32_e32 v5, 0x80
	s_mov_b32 s5, exec_lo
	v_cmpx_gt_u32_e32 0x43800000, v3
	s_cbranch_execz .LBB17_1894
; %bb.1889:
	v_cmp_lt_u32_e32 vcc_lo, 0x3bffffff, v3
	s_mov_b32 s10, 0
                                        ; implicit-def: $vgpr3
	s_and_saveexec_b32 s11, vcc_lo
	s_xor_b32 s11, exec_lo, s11
	s_cbranch_execz .LBB17_2071
; %bb.1890:
	v_bfe_u32 v3, v4, 20, 1
	s_mov_b32 s10, exec_lo
	v_add3_u32 v3, v4, v3, 0x487ffff
	v_lshrrev_b32_e32 v3, 20, v3
	s_andn2_saveexec_b32 s11, s11
	s_cbranch_execnz .LBB17_2072
.LBB17_1891:
	s_or_b32 exec_lo, exec_lo, s11
	v_mov_b32_e32 v5, 0
	s_and_saveexec_b32 s11, s10
.LBB17_1892:
	v_lshrrev_b32_e32 v5, 24, v4
	v_and_or_b32 v5, 0x80, v5, v3
.LBB17_1893:
	s_or_b32 exec_lo, exec_lo, s11
.LBB17_1894:
	s_or_b32 exec_lo, exec_lo, s5
	global_store_byte v[0:1], v5, off
.LBB17_1895:
	s_mov_b32 s5, -1
.LBB17_1896:
	s_mov_b32 s10, 0
.LBB17_1897:
	s_and_b32 vcc_lo, exec_lo, s10
	s_cbranch_vccz .LBB17_1937
; %bb.1898:
	s_cmp_gt_i32 s2, 22
	s_mov_b32 s3, -1
	s_cbranch_scc0 .LBB17_1930
; %bb.1899:
	s_cmp_lt_i32 s2, 24
	s_cbranch_scc1 .LBB17_1919
; %bb.1900:
	s_cmp_gt_i32 s2, 24
	s_cbranch_scc0 .LBB17_1908
; %bb.1901:
	v_and_b32_e32 v3, 0x7fffffff, v4
	v_mov_b32_e32 v5, 0x80
	s_mov_b32 s3, exec_lo
	v_cmpx_gt_u32_e32 0x47800000, v3
	s_cbranch_execz .LBB17_1907
; %bb.1902:
	v_cmp_lt_u32_e32 vcc_lo, 0x37ffffff, v3
	s_mov_b32 s5, 0
                                        ; implicit-def: $vgpr3
	s_and_saveexec_b32 s10, vcc_lo
	s_xor_b32 s10, exec_lo, s10
	s_cbranch_execz .LBB17_2074
; %bb.1903:
	v_bfe_u32 v3, v4, 21, 1
	s_mov_b32 s5, exec_lo
	v_add3_u32 v3, v4, v3, 0x88fffff
	v_lshrrev_b32_e32 v3, 21, v3
	s_andn2_saveexec_b32 s10, s10
	s_cbranch_execnz .LBB17_2075
.LBB17_1904:
	s_or_b32 exec_lo, exec_lo, s10
	v_mov_b32_e32 v5, 0
	s_and_saveexec_b32 s10, s5
.LBB17_1905:
	v_lshrrev_b32_e32 v5, 24, v4
	v_and_or_b32 v5, 0x80, v5, v3
.LBB17_1906:
	s_or_b32 exec_lo, exec_lo, s10
.LBB17_1907:
	s_or_b32 exec_lo, exec_lo, s3
	s_mov_b32 s3, 0
	global_store_byte v[0:1], v5, off
.LBB17_1908:
	s_and_b32 vcc_lo, exec_lo, s3
	s_cbranch_vccz .LBB17_1918
; %bb.1909:
	v_and_b32_e32 v5, 0x7fffffff, v4
	s_mov_b32 s3, exec_lo
                                        ; implicit-def: $vgpr3
	v_cmpx_gt_u32_e32 0x43f00000, v5
	s_xor_b32 s3, exec_lo, s3
	s_cbranch_execz .LBB17_1915
; %bb.1910:
	s_mov_b32 s5, exec_lo
                                        ; implicit-def: $vgpr3
	v_cmpx_lt_u32_e32 0x3c7fffff, v5
	s_xor_b32 s5, exec_lo, s5
; %bb.1911:
	v_bfe_u32 v3, v4, 20, 1
	v_add3_u32 v3, v4, v3, 0x407ffff
	v_and_b32_e32 v5, 0xff00000, v3
	v_lshrrev_b32_e32 v3, 20, v3
	v_cmp_ne_u32_e32 vcc_lo, 0x7f00000, v5
	v_cndmask_b32_e32 v3, 0x7e, v3, vcc_lo
; %bb.1912:
	s_andn2_saveexec_b32 s5, s5
; %bb.1913:
	v_add_f32_e64 v3, 0x46800000, |v4|
; %bb.1914:
	s_or_b32 exec_lo, exec_lo, s5
                                        ; implicit-def: $vgpr5
.LBB17_1915:
	s_andn2_saveexec_b32 s3, s3
; %bb.1916:
	v_mov_b32_e32 v3, 0x7f
	v_cmp_lt_u32_e32 vcc_lo, 0x7f800000, v5
	v_cndmask_b32_e32 v3, 0x7e, v3, vcc_lo
; %bb.1917:
	s_or_b32 exec_lo, exec_lo, s3
	v_lshrrev_b32_e32 v5, 24, v4
	v_and_or_b32 v3, 0x80, v5, v3
	global_store_byte v[0:1], v3, off
.LBB17_1918:
	s_mov_b32 s3, 0
.LBB17_1919:
	s_andn2_b32 vcc_lo, exec_lo, s3
	s_cbranch_vccnz .LBB17_1929
; %bb.1920:
	v_and_b32_e32 v5, 0x7fffffff, v4
	s_mov_b32 s3, exec_lo
                                        ; implicit-def: $vgpr3
	v_cmpx_gt_u32_e32 0x47800000, v5
	s_xor_b32 s3, exec_lo, s3
	s_cbranch_execz .LBB17_1926
; %bb.1921:
	s_mov_b32 s5, exec_lo
                                        ; implicit-def: $vgpr3
	v_cmpx_lt_u32_e32 0x387fffff, v5
	s_xor_b32 s5, exec_lo, s5
; %bb.1922:
	v_bfe_u32 v3, v4, 21, 1
	v_add3_u32 v3, v4, v3, 0x80fffff
	v_lshrrev_b32_e32 v3, 21, v3
; %bb.1923:
	s_andn2_saveexec_b32 s5, s5
; %bb.1924:
	v_add_f32_e64 v3, 0x43000000, |v4|
; %bb.1925:
	s_or_b32 exec_lo, exec_lo, s5
                                        ; implicit-def: $vgpr5
.LBB17_1926:
	s_andn2_saveexec_b32 s3, s3
; %bb.1927:
	v_mov_b32_e32 v3, 0x7f
	v_cmp_lt_u32_e32 vcc_lo, 0x7f800000, v5
	v_cndmask_b32_e32 v3, 0x7c, v3, vcc_lo
; %bb.1928:
	s_or_b32 exec_lo, exec_lo, s3
	v_lshrrev_b32_e32 v5, 24, v4
	v_and_or_b32 v3, 0x80, v5, v3
	global_store_byte v[0:1], v3, off
.LBB17_1929:
	s_mov_b32 s3, 0
	s_mov_b32 s5, -1
.LBB17_1930:
	s_andn2_b32 vcc_lo, exec_lo, s3
	s_mov_b32 s3, 0
	s_cbranch_vccnz .LBB17_1937
; %bb.1931:
	s_cmp_gt_i32 s2, 14
	s_mov_b32 s3, -1
	s_cbranch_scc0 .LBB17_1935
; %bb.1932:
	s_cmp_eq_u32 s2, 15
	s_mov_b32 s0, -1
	s_cbranch_scc0 .LBB17_1934
; %bb.1933:
	v_bfe_u32 v3, v4, 16, 1
	v_cmp_o_f32_e32 vcc_lo, v4, v4
	v_mov_b32_e32 v5, 0x7fc0
	s_mov_b32 s0, 0
	s_mov_b32 s5, -1
	v_add3_u32 v3, v4, v3, 0x7fff
	v_cndmask_b32_sdwa v3, v5, v3, vcc_lo dst_sel:DWORD dst_unused:UNUSED_PAD src0_sel:DWORD src1_sel:WORD_1
	global_store_short v[0:1], v3, off
.LBB17_1934:
	s_mov_b32 s3, 0
.LBB17_1935:
	s_and_b32 vcc_lo, exec_lo, s3
	s_mov_b32 s3, 0
	s_cbranch_vccz .LBB17_1937
; %bb.1936:
	s_cmp_lg_u32 s2, 11
	s_mov_b32 s3, -1
	s_cselect_b32 s0, -1, 0
.LBB17_1937:
	s_and_b32 vcc_lo, exec_lo, s0
	s_cbranch_vccnz .LBB17_2073
; %bb.1938:
	s_andn2_b32 vcc_lo, exec_lo, s3
	s_cbranch_vccnz .LBB17_1940
.LBB17_1939:
	v_cmp_neq_f32_e32 vcc_lo, 0, v4
	s_mov_b32 s5, -1
	v_cndmask_b32_e64 v3, 0, 1, vcc_lo
	global_store_byte v[0:1], v3, off
.LBB17_1940:
	s_mov_b32 s0, 0
	s_branch .LBB17_1942
.LBB17_1941:
	s_mov_b32 s0, -1
	s_mov_b32 s5, 0
.LBB17_1942:
	s_and_b32 vcc_lo, exec_lo, s0
	s_cbranch_vccz .LBB17_1981
; %bb.1943:
	s_and_b32 s0, 0xffff, s12
	s_mov_b32 s2, -1
	s_cmp_lt_i32 s0, 5
	s_cbranch_scc1 .LBB17_1964
; %bb.1944:
	s_cmp_lt_i32 s0, 8
	s_cbranch_scc1 .LBB17_1954
; %bb.1945:
	;; [unrolled: 3-line block ×3, first 2 shown]
	s_cmp_gt_i32 s0, 9
	s_cbranch_scc0 .LBB17_1948
; %bb.1947:
	v_cvt_f64_f32_e32 v[7:8], v4
	v_mov_b32_e32 v9, 0
	s_mov_b32 s2, 0
	v_mov_b32_e32 v10, v9
	global_store_dwordx4 v[0:1], v[7:10], off
.LBB17_1948:
	s_andn2_b32 vcc_lo, exec_lo, s2
	s_cbranch_vccnz .LBB17_1950
; %bb.1949:
	v_mov_b32_e32 v5, 0
	global_store_dwordx2 v[0:1], v[4:5], off
.LBB17_1950:
	s_mov_b32 s2, 0
.LBB17_1951:
	s_andn2_b32 vcc_lo, exec_lo, s2
	s_cbranch_vccnz .LBB17_1953
; %bb.1952:
	v_cvt_f16_f32_e32 v3, v4
	v_and_b32_e32 v3, 0xffff, v3
	global_store_dword v[0:1], v3, off
.LBB17_1953:
	s_mov_b32 s2, 0
.LBB17_1954:
	s_andn2_b32 vcc_lo, exec_lo, s2
	s_cbranch_vccnz .LBB17_1963
; %bb.1955:
	s_cmp_lt_i32 s0, 6
	s_mov_b32 s2, -1
	s_cbranch_scc1 .LBB17_1961
; %bb.1956:
	s_cmp_gt_i32 s0, 6
	s_cbranch_scc0 .LBB17_1958
; %bb.1957:
	v_cvt_f64_f32_e32 v[7:8], v4
	s_mov_b32 s2, 0
	global_store_dwordx2 v[0:1], v[7:8], off
.LBB17_1958:
	s_andn2_b32 vcc_lo, exec_lo, s2
	s_cbranch_vccnz .LBB17_1960
; %bb.1959:
	global_store_dword v[0:1], v4, off
.LBB17_1960:
	s_mov_b32 s2, 0
.LBB17_1961:
	s_andn2_b32 vcc_lo, exec_lo, s2
	s_cbranch_vccnz .LBB17_1963
; %bb.1962:
	v_cvt_f16_f32_e32 v3, v4
	global_store_short v[0:1], v3, off
.LBB17_1963:
	s_mov_b32 s2, 0
.LBB17_1964:
	s_andn2_b32 vcc_lo, exec_lo, s2
	s_cbranch_vccnz .LBB17_1980
; %bb.1965:
	s_cmp_lt_i32 s0, 2
	s_mov_b32 s2, -1
	s_cbranch_scc1 .LBB17_1975
; %bb.1966:
	s_cmp_lt_i32 s0, 3
	s_cbranch_scc1 .LBB17_1972
; %bb.1967:
	s_cmp_gt_i32 s0, 3
	s_cbranch_scc0 .LBB17_1969
; %bb.1968:
	v_trunc_f32_e32 v3, v4
	s_mov_b32 s2, 0
	v_mul_f32_e64 v5, 0x2f800000, |v3|
	v_floor_f32_e32 v5, v5
	v_fma_f32 v7, 0xcf800000, v5, |v3|
	v_ashrrev_i32_e32 v3, 31, v3
	v_cvt_u32_f32_e32 v5, v5
	v_cvt_u32_f32_e32 v7, v7
	v_xor_b32_e32 v5, v5, v3
	v_xor_b32_e32 v7, v7, v3
	v_sub_co_u32 v7, vcc_lo, v7, v3
	v_sub_co_ci_u32_e64 v8, null, v5, v3, vcc_lo
	global_store_dwordx2 v[0:1], v[7:8], off
.LBB17_1969:
	s_andn2_b32 vcc_lo, exec_lo, s2
	s_cbranch_vccnz .LBB17_1971
; %bb.1970:
	v_cvt_i32_f32_e32 v3, v4
	global_store_dword v[0:1], v3, off
.LBB17_1971:
	s_mov_b32 s2, 0
.LBB17_1972:
	s_andn2_b32 vcc_lo, exec_lo, s2
	s_cbranch_vccnz .LBB17_1974
; %bb.1973:
	v_cvt_i32_f32_e32 v3, v4
	global_store_short v[0:1], v3, off
.LBB17_1974:
	s_mov_b32 s2, 0
.LBB17_1975:
	s_andn2_b32 vcc_lo, exec_lo, s2
	s_cbranch_vccnz .LBB17_1980
; %bb.1976:
	s_cmp_gt_i32 s0, 0
	s_mov_b32 s0, -1
	s_cbranch_scc0 .LBB17_1978
; %bb.1977:
	v_cvt_i32_f32_e32 v3, v4
	s_mov_b32 s0, 0
	global_store_byte v[0:1], v3, off
.LBB17_1978:
	s_andn2_b32 vcc_lo, exec_lo, s0
	s_cbranch_vccnz .LBB17_1980
; %bb.1979:
	v_trunc_f32_e32 v3, v4
	v_mul_f32_e64 v4, 0x2f800000, |v3|
	v_floor_f32_e32 v4, v4
	v_fma_f32 v4, 0xcf800000, v4, |v3|
	v_ashrrev_i32_e32 v3, 31, v3
	v_cvt_u32_f32_e32 v4, v4
	v_xor_b32_e32 v4, v4, v3
	v_sub_nc_u32_e32 v3, v4, v3
	global_store_byte v[0:1], v3, off
.LBB17_1980:
	s_mov_b32 s5, -1
.LBB17_1981:
	s_andn2_b32 vcc_lo, exec_lo, s5
	s_cbranch_vccnz .LBB17_2058
; %bb.1982:
	v_add_nc_u32_e32 v0, s1, v2
	s_cmp_lt_i32 s12, 11
	v_ashrrev_i32_e32 v1, 31, v0
	v_add_co_u32 v0, vcc_lo, s8, v0
	v_add_co_ci_u32_e64 v1, null, s9, v1, vcc_lo
	s_cbranch_scc1 .LBB17_2059
; %bb.1983:
	s_and_b32 s1, 0xffff, s12
	s_mov_b32 s3, -1
	s_mov_b32 s2, 0
	s_cmp_gt_i32 s1, 25
	s_mov_b32 s0, 0
	s_cbranch_scc0 .LBB17_2016
; %bb.1984:
	s_cmp_gt_i32 s1, 28
	s_cbranch_scc0 .LBB17_2000
; %bb.1985:
	s_cmp_gt_i32 s1, 43
	;; [unrolled: 3-line block ×3, first 2 shown]
	s_cbranch_scc0 .LBB17_1990
; %bb.1987:
	s_cmp_eq_u32 s1, 46
	s_mov_b32 s0, -1
	s_cbranch_scc0 .LBB17_1989
; %bb.1988:
	v_bfe_u32 v2, v6, 16, 1
	v_cmp_o_f32_e32 vcc_lo, v6, v6
	v_mov_b32_e32 v3, 0x7fc0
	s_mov_b32 s0, 0
	v_add3_u32 v2, v6, v2, 0x7fff
	v_cndmask_b32_sdwa v2, v3, v2, vcc_lo dst_sel:DWORD dst_unused:UNUSED_PAD src0_sel:DWORD src1_sel:WORD_1
	global_store_dword v[0:1], v2, off
.LBB17_1989:
	s_mov_b32 s3, 0
.LBB17_1990:
	s_and_b32 vcc_lo, exec_lo, s3
	s_cbranch_vccz .LBB17_1995
; %bb.1991:
	s_cmp_eq_u32 s1, 44
	s_mov_b32 s0, -1
	s_cbranch_scc0 .LBB17_1995
; %bb.1992:
	v_bfe_u32 v3, v6, 23, 8
	v_mov_b32_e32 v2, 0xff
	s_mov_b32 s3, exec_lo
	v_cmpx_ne_u32_e32 0xff, v3
	s_cbranch_execz .LBB17_1994
; %bb.1993:
	v_and_b32_e32 v2, 0x400000, v6
	v_and_or_b32 v3, 0x3fffff, v6, v3
	v_cmp_ne_u32_e32 vcc_lo, 0, v2
	v_cmp_ne_u32_e64 s0, 0, v3
	v_lshrrev_b32_e32 v2, 23, v6
	s_and_b32 s0, vcc_lo, s0
	v_cndmask_b32_e64 v3, 0, 1, s0
	v_add_nc_u32_e32 v2, v2, v3
.LBB17_1994:
	s_or_b32 exec_lo, exec_lo, s3
	s_mov_b32 s0, 0
	global_store_byte v[0:1], v2, off
.LBB17_1995:
	s_mov_b32 s3, 0
.LBB17_1996:
	s_and_b32 vcc_lo, exec_lo, s3
	s_cbranch_vccz .LBB17_1999
; %bb.1997:
	s_cmp_eq_u32 s1, 29
	s_mov_b32 s0, -1
	s_cbranch_scc0 .LBB17_1999
; %bb.1998:
	v_trunc_f32_e32 v2, v6
	s_mov_b32 s0, 0
	v_mul_f32_e32 v3, 0x2f800000, v2
	v_floor_f32_e32 v3, v3
	v_fmamk_f32 v2, v3, 0xcf800000, v2
	v_cvt_u32_f32_e32 v3, v3
	v_cvt_u32_f32_e32 v2, v2
	global_store_dwordx2 v[0:1], v[2:3], off
.LBB17_1999:
	s_mov_b32 s3, 0
.LBB17_2000:
	s_and_b32 vcc_lo, exec_lo, s3
	s_cbranch_vccz .LBB17_2015
; %bb.2001:
	s_cmp_lt_i32 s1, 27
	s_mov_b32 s3, -1
	s_cbranch_scc1 .LBB17_2007
; %bb.2002:
	v_cvt_u32_f32_e32 v2, v6
	s_cmp_gt_i32 s1, 27
	s_cbranch_scc0 .LBB17_2004
; %bb.2003:
	s_mov_b32 s3, 0
	global_store_dword v[0:1], v2, off
.LBB17_2004:
	s_andn2_b32 vcc_lo, exec_lo, s3
	s_cbranch_vccnz .LBB17_2006
; %bb.2005:
	global_store_short v[0:1], v2, off
.LBB17_2006:
	s_mov_b32 s3, 0
.LBB17_2007:
	s_andn2_b32 vcc_lo, exec_lo, s3
	s_cbranch_vccnz .LBB17_2015
; %bb.2008:
	v_and_b32_e32 v2, 0x7fffffff, v6
	v_mov_b32_e32 v3, 0x80
	s_mov_b32 s3, exec_lo
	v_cmpx_gt_u32_e32 0x43800000, v2
	s_cbranch_execz .LBB17_2014
; %bb.2009:
	v_cmp_lt_u32_e32 vcc_lo, 0x3bffffff, v2
	s_mov_b32 s5, 0
                                        ; implicit-def: $vgpr2
	s_and_saveexec_b32 s8, vcc_lo
	s_xor_b32 s8, exec_lo, s8
	s_cbranch_execz .LBB17_2076
; %bb.2010:
	v_bfe_u32 v2, v6, 20, 1
	s_mov_b32 s5, exec_lo
	v_add3_u32 v2, v6, v2, 0x487ffff
	v_lshrrev_b32_e32 v2, 20, v2
	s_andn2_saveexec_b32 s8, s8
	s_cbranch_execnz .LBB17_2077
.LBB17_2011:
	s_or_b32 exec_lo, exec_lo, s8
	v_mov_b32_e32 v3, 0
	s_and_saveexec_b32 s8, s5
.LBB17_2012:
	v_lshrrev_b32_e32 v3, 24, v6
	v_and_or_b32 v3, 0x80, v3, v2
.LBB17_2013:
	s_or_b32 exec_lo, exec_lo, s8
.LBB17_2014:
	s_or_b32 exec_lo, exec_lo, s3
	global_store_byte v[0:1], v3, off
.LBB17_2015:
	s_mov_b32 s3, 0
.LBB17_2016:
	s_and_b32 vcc_lo, exec_lo, s3
	s_cbranch_vccz .LBB17_2056
; %bb.2017:
	s_cmp_gt_i32 s1, 22
	s_mov_b32 s2, -1
	s_cbranch_scc0 .LBB17_2049
; %bb.2018:
	s_cmp_lt_i32 s1, 24
	s_cbranch_scc1 .LBB17_2038
; %bb.2019:
	s_cmp_gt_i32 s1, 24
	s_cbranch_scc0 .LBB17_2027
; %bb.2020:
	v_and_b32_e32 v2, 0x7fffffff, v6
	v_mov_b32_e32 v3, 0x80
	s_mov_b32 s2, exec_lo
	v_cmpx_gt_u32_e32 0x47800000, v2
	s_cbranch_execz .LBB17_2026
; %bb.2021:
	v_cmp_lt_u32_e32 vcc_lo, 0x37ffffff, v2
	s_mov_b32 s3, 0
                                        ; implicit-def: $vgpr2
	s_and_saveexec_b32 s5, vcc_lo
	s_xor_b32 s5, exec_lo, s5
	s_cbranch_execz .LBB17_2079
; %bb.2022:
	v_bfe_u32 v2, v6, 21, 1
	s_mov_b32 s3, exec_lo
	v_add3_u32 v2, v6, v2, 0x88fffff
	v_lshrrev_b32_e32 v2, 21, v2
	s_andn2_saveexec_b32 s5, s5
	s_cbranch_execnz .LBB17_2080
.LBB17_2023:
	s_or_b32 exec_lo, exec_lo, s5
	v_mov_b32_e32 v3, 0
	s_and_saveexec_b32 s5, s3
.LBB17_2024:
	v_lshrrev_b32_e32 v3, 24, v6
	v_and_or_b32 v3, 0x80, v3, v2
.LBB17_2025:
	s_or_b32 exec_lo, exec_lo, s5
.LBB17_2026:
	s_or_b32 exec_lo, exec_lo, s2
	s_mov_b32 s2, 0
	global_store_byte v[0:1], v3, off
.LBB17_2027:
	s_and_b32 vcc_lo, exec_lo, s2
	s_cbranch_vccz .LBB17_2037
; %bb.2028:
	v_and_b32_e32 v3, 0x7fffffff, v6
	s_mov_b32 s2, exec_lo
                                        ; implicit-def: $vgpr2
	v_cmpx_gt_u32_e32 0x43f00000, v3
	s_xor_b32 s2, exec_lo, s2
	s_cbranch_execz .LBB17_2034
; %bb.2029:
	s_mov_b32 s3, exec_lo
                                        ; implicit-def: $vgpr2
	v_cmpx_lt_u32_e32 0x3c7fffff, v3
	s_xor_b32 s3, exec_lo, s3
; %bb.2030:
	v_bfe_u32 v2, v6, 20, 1
	v_add3_u32 v2, v6, v2, 0x407ffff
	v_and_b32_e32 v3, 0xff00000, v2
	v_lshrrev_b32_e32 v2, 20, v2
	v_cmp_ne_u32_e32 vcc_lo, 0x7f00000, v3
	v_cndmask_b32_e32 v2, 0x7e, v2, vcc_lo
; %bb.2031:
	s_andn2_saveexec_b32 s3, s3
; %bb.2032:
	v_add_f32_e64 v2, 0x46800000, |v6|
; %bb.2033:
	s_or_b32 exec_lo, exec_lo, s3
                                        ; implicit-def: $vgpr3
.LBB17_2034:
	s_andn2_saveexec_b32 s2, s2
; %bb.2035:
	v_mov_b32_e32 v2, 0x7f
	v_cmp_lt_u32_e32 vcc_lo, 0x7f800000, v3
	v_cndmask_b32_e32 v2, 0x7e, v2, vcc_lo
; %bb.2036:
	s_or_b32 exec_lo, exec_lo, s2
	v_lshrrev_b32_e32 v3, 24, v6
	v_and_or_b32 v2, 0x80, v3, v2
	global_store_byte v[0:1], v2, off
.LBB17_2037:
	s_mov_b32 s2, 0
.LBB17_2038:
	s_andn2_b32 vcc_lo, exec_lo, s2
	s_cbranch_vccnz .LBB17_2048
; %bb.2039:
	v_and_b32_e32 v3, 0x7fffffff, v6
	s_mov_b32 s2, exec_lo
                                        ; implicit-def: $vgpr2
	v_cmpx_gt_u32_e32 0x47800000, v3
	s_xor_b32 s2, exec_lo, s2
	s_cbranch_execz .LBB17_2045
; %bb.2040:
	s_mov_b32 s3, exec_lo
                                        ; implicit-def: $vgpr2
	v_cmpx_lt_u32_e32 0x387fffff, v3
	s_xor_b32 s3, exec_lo, s3
; %bb.2041:
	v_bfe_u32 v2, v6, 21, 1
	v_add3_u32 v2, v6, v2, 0x80fffff
	v_lshrrev_b32_e32 v2, 21, v2
; %bb.2042:
	s_andn2_saveexec_b32 s3, s3
; %bb.2043:
	v_add_f32_e64 v2, 0x43000000, |v6|
; %bb.2044:
	s_or_b32 exec_lo, exec_lo, s3
                                        ; implicit-def: $vgpr3
.LBB17_2045:
	s_andn2_saveexec_b32 s2, s2
; %bb.2046:
	v_mov_b32_e32 v2, 0x7f
	v_cmp_lt_u32_e32 vcc_lo, 0x7f800000, v3
	v_cndmask_b32_e32 v2, 0x7c, v2, vcc_lo
; %bb.2047:
	s_or_b32 exec_lo, exec_lo, s2
	v_lshrrev_b32_e32 v3, 24, v6
	v_and_or_b32 v2, 0x80, v3, v2
	global_store_byte v[0:1], v2, off
.LBB17_2048:
	s_mov_b32 s2, 0
.LBB17_2049:
	s_andn2_b32 vcc_lo, exec_lo, s2
	s_mov_b32 s2, 0
	s_cbranch_vccnz .LBB17_2056
; %bb.2050:
	s_cmp_gt_i32 s1, 14
	s_mov_b32 s2, -1
	s_cbranch_scc0 .LBB17_2054
; %bb.2051:
	s_cmp_eq_u32 s1, 15
	s_mov_b32 s0, -1
	s_cbranch_scc0 .LBB17_2053
; %bb.2052:
	v_bfe_u32 v2, v6, 16, 1
	v_cmp_o_f32_e32 vcc_lo, v6, v6
	v_mov_b32_e32 v3, 0x7fc0
	s_mov_b32 s0, 0
	v_add3_u32 v2, v6, v2, 0x7fff
	v_cndmask_b32_sdwa v2, v3, v2, vcc_lo dst_sel:DWORD dst_unused:UNUSED_PAD src0_sel:DWORD src1_sel:WORD_1
	global_store_short v[0:1], v2, off
.LBB17_2053:
	s_mov_b32 s2, 0
.LBB17_2054:
	s_and_b32 vcc_lo, exec_lo, s2
	s_mov_b32 s2, 0
	s_cbranch_vccz .LBB17_2056
; %bb.2055:
	s_cmp_lg_u32 s1, 11
	s_mov_b32 s2, -1
	s_cselect_b32 s0, -1, 0
.LBB17_2056:
	s_and_b32 vcc_lo, exec_lo, s0
	s_cbranch_vccnz .LBB17_2078
.LBB17_2057:
	s_mov_b32 s0, 0
	s_branch .LBB17_1659
.LBB17_2058:
	s_mov_b32 s0, 0
	s_mov_b32 s2, 0
                                        ; implicit-def: $sgpr12
                                        ; implicit-def: $vgpr0_vgpr1
	s_branch .LBB17_1659
.LBB17_2059:
	s_mov_b32 s2, 0
	s_mov_b32 s0, -1
	s_branch .LBB17_1659
.LBB17_2060:
	s_or_b32 s4, s4, exec_lo
	s_trap 2
	s_cbranch_execz .LBB17_1524
	s_branch .LBB17_1525
.LBB17_2061:
	s_andn2_saveexec_b32 s11, s11
	s_cbranch_execz .LBB17_1608
.LBB17_2062:
	v_add_f32_e64 v1, 0x46000000, |v0|
	s_andn2_b32 s10, s10, exec_lo
	v_and_b32_e32 v1, 0xff, v1
	v_cmp_ne_u32_e32 vcc_lo, 0, v1
	s_and_b32 s13, vcc_lo, exec_lo
	s_or_b32 s10, s10, s13
	s_or_b32 exec_lo, exec_lo, s11
	v_mov_b32_e32 v5, 0
	s_and_saveexec_b32 s11, s10
	s_cbranch_execnz .LBB17_1609
	s_branch .LBB17_1610
.LBB17_2063:
	s_or_b32 s4, s4, exec_lo
	s_trap 2
	s_cbranch_execz .LBB17_1656
	s_branch .LBB17_1657
.LBB17_2064:
	s_andn2_saveexec_b32 s10, s10
	s_cbranch_execz .LBB17_1621
.LBB17_2065:
	v_add_f32_e64 v1, 0x42800000, |v0|
	s_andn2_b32 s5, s5, exec_lo
	v_and_b32_e32 v1, 0xff, v1
	v_cmp_ne_u32_e32 vcc_lo, 0, v1
	s_and_b32 s11, vcc_lo, exec_lo
	s_or_b32 s5, s5, s11
	s_or_b32 exec_lo, exec_lo, s10
	v_mov_b32_e32 v5, 0
	s_and_saveexec_b32 s10, s5
	s_cbranch_execnz .LBB17_1622
	s_branch .LBB17_1623
.LBB17_2066:
	s_andn2_saveexec_b32 s11, s11
	s_cbranch_execz .LBB17_1772
.LBB17_2067:
	v_add_f32_e64 v3, 0x46000000, |v2|
	s_andn2_b32 s10, s10, exec_lo
	v_and_b32_e32 v3, 0xff, v3
	v_cmp_ne_u32_e32 vcc_lo, 0, v3
	s_and_b32 s13, vcc_lo, exec_lo
	s_or_b32 s10, s10, s13
	s_or_b32 exec_lo, exec_lo, s11
	v_mov_b32_e32 v7, 0
	s_and_saveexec_b32 s11, s10
	s_cbranch_execnz .LBB17_1773
	s_branch .LBB17_1774
.LBB17_2068:
	s_or_b32 s4, s4, exec_lo
	s_trap 2
	s_cbranch_execz .LBB17_1820
	s_branch .LBB17_1821
.LBB17_2069:
	s_andn2_saveexec_b32 s10, s10
	s_cbranch_execz .LBB17_1785
.LBB17_2070:
	v_add_f32_e64 v3, 0x42800000, |v2|
	s_andn2_b32 s5, s5, exec_lo
	v_and_b32_e32 v3, 0xff, v3
	v_cmp_ne_u32_e32 vcc_lo, 0, v3
	s_and_b32 s11, vcc_lo, exec_lo
	s_or_b32 s5, s5, s11
	s_or_b32 exec_lo, exec_lo, s10
	v_mov_b32_e32 v7, 0
	s_and_saveexec_b32 s10, s5
	s_cbranch_execnz .LBB17_1786
	s_branch .LBB17_1787
.LBB17_2071:
	s_andn2_saveexec_b32 s11, s11
	s_cbranch_execz .LBB17_1891
.LBB17_2072:
	v_add_f32_e64 v3, 0x46000000, |v4|
	s_andn2_b32 s10, s10, exec_lo
	v_and_b32_e32 v3, 0xff, v3
	v_cmp_ne_u32_e32 vcc_lo, 0, v3
	s_and_b32 s13, vcc_lo, exec_lo
	s_or_b32 s10, s10, s13
	s_or_b32 exec_lo, exec_lo, s11
	v_mov_b32_e32 v5, 0
	s_and_saveexec_b32 s11, s10
	s_cbranch_execnz .LBB17_1892
	s_branch .LBB17_1893
.LBB17_2073:
	s_or_b32 s4, s4, exec_lo
	s_trap 2
	s_cbranch_execz .LBB17_1939
	s_branch .LBB17_1940
.LBB17_2074:
	s_andn2_saveexec_b32 s10, s10
	s_cbranch_execz .LBB17_1904
.LBB17_2075:
	v_add_f32_e64 v3, 0x42800000, |v4|
	s_andn2_b32 s5, s5, exec_lo
	v_and_b32_e32 v3, 0xff, v3
	v_cmp_ne_u32_e32 vcc_lo, 0, v3
	s_and_b32 s11, vcc_lo, exec_lo
	s_or_b32 s5, s5, s11
	s_or_b32 exec_lo, exec_lo, s10
	v_mov_b32_e32 v5, 0
	s_and_saveexec_b32 s10, s5
	s_cbranch_execnz .LBB17_1905
	s_branch .LBB17_1906
.LBB17_2076:
	s_andn2_saveexec_b32 s8, s8
	s_cbranch_execz .LBB17_2011
.LBB17_2077:
	v_add_f32_e64 v2, 0x46000000, |v6|
	s_andn2_b32 s5, s5, exec_lo
	v_and_b32_e32 v2, 0xff, v2
	v_cmp_ne_u32_e32 vcc_lo, 0, v2
	s_and_b32 s9, vcc_lo, exec_lo
	s_or_b32 s5, s5, s9
	s_or_b32 exec_lo, exec_lo, s8
	v_mov_b32_e32 v3, 0
	s_and_saveexec_b32 s8, s5
	s_cbranch_execnz .LBB17_2012
	s_branch .LBB17_2013
.LBB17_2078:
	s_mov_b32 s2, 0
	s_or_b32 s4, s4, exec_lo
	s_trap 2
	s_branch .LBB17_2057
.LBB17_2079:
	s_andn2_saveexec_b32 s5, s5
	s_cbranch_execz .LBB17_2023
.LBB17_2080:
	v_add_f32_e64 v2, 0x42800000, |v6|
	s_andn2_b32 s3, s3, exec_lo
	v_and_b32_e32 v2, 0xff, v2
	v_cmp_ne_u32_e32 vcc_lo, 0, v2
	s_and_b32 s8, vcc_lo, exec_lo
	s_or_b32 s3, s3, s8
	s_or_b32 exec_lo, exec_lo, s5
	v_mov_b32_e32 v3, 0
	s_and_saveexec_b32 s5, s3
	s_cbranch_execnz .LBB17_2024
	s_branch .LBB17_2025
	.section	.rodata,"a",@progbits
	.p2align	6, 0x0
	.amdhsa_kernel _ZN2at6native32elementwise_kernel_manual_unrollILi128ELi4EZNS0_15gpu_kernel_implIZZZNS0_12_GLOBAL__N_130modified_bessel_i0_kernel_cudaERNS_18TensorIteratorBaseEENKUlvE_clEvENKUlvE0_clEvEUlfE_EEvS5_RKT_EUlibE_EEviT1_
		.amdhsa_group_segment_fixed_size 0
		.amdhsa_private_segment_fixed_size 0
		.amdhsa_kernarg_size 40
		.amdhsa_user_sgpr_count 6
		.amdhsa_user_sgpr_private_segment_buffer 1
		.amdhsa_user_sgpr_dispatch_ptr 0
		.amdhsa_user_sgpr_queue_ptr 0
		.amdhsa_user_sgpr_kernarg_segment_ptr 1
		.amdhsa_user_sgpr_dispatch_id 0
		.amdhsa_user_sgpr_flat_scratch_init 0
		.amdhsa_user_sgpr_private_segment_size 0
		.amdhsa_wavefront_size32 1
		.amdhsa_uses_dynamic_stack 0
		.amdhsa_system_sgpr_private_segment_wavefront_offset 0
		.amdhsa_system_sgpr_workgroup_id_x 1
		.amdhsa_system_sgpr_workgroup_id_y 0
		.amdhsa_system_sgpr_workgroup_id_z 0
		.amdhsa_system_sgpr_workgroup_info 0
		.amdhsa_system_vgpr_workitem_id 0
		.amdhsa_next_free_vgpr 16
		.amdhsa_next_free_sgpr 26
		.amdhsa_reserve_vcc 1
		.amdhsa_reserve_flat_scratch 0
		.amdhsa_float_round_mode_32 0
		.amdhsa_float_round_mode_16_64 0
		.amdhsa_float_denorm_mode_32 3
		.amdhsa_float_denorm_mode_16_64 3
		.amdhsa_dx10_clamp 1
		.amdhsa_ieee_mode 1
		.amdhsa_fp16_overflow 0
		.amdhsa_workgroup_processor_mode 1
		.amdhsa_memory_ordered 1
		.amdhsa_forward_progress 1
		.amdhsa_shared_vgpr_count 0
		.amdhsa_exception_fp_ieee_invalid_op 0
		.amdhsa_exception_fp_denorm_src 0
		.amdhsa_exception_fp_ieee_div_zero 0
		.amdhsa_exception_fp_ieee_overflow 0
		.amdhsa_exception_fp_ieee_underflow 0
		.amdhsa_exception_fp_ieee_inexact 0
		.amdhsa_exception_int_div_zero 0
	.end_amdhsa_kernel
	.section	.text._ZN2at6native32elementwise_kernel_manual_unrollILi128ELi4EZNS0_15gpu_kernel_implIZZZNS0_12_GLOBAL__N_130modified_bessel_i0_kernel_cudaERNS_18TensorIteratorBaseEENKUlvE_clEvENKUlvE0_clEvEUlfE_EEvS5_RKT_EUlibE_EEviT1_,"axG",@progbits,_ZN2at6native32elementwise_kernel_manual_unrollILi128ELi4EZNS0_15gpu_kernel_implIZZZNS0_12_GLOBAL__N_130modified_bessel_i0_kernel_cudaERNS_18TensorIteratorBaseEENKUlvE_clEvENKUlvE0_clEvEUlfE_EEvS5_RKT_EUlibE_EEviT1_,comdat
.Lfunc_end17:
	.size	_ZN2at6native32elementwise_kernel_manual_unrollILi128ELi4EZNS0_15gpu_kernel_implIZZZNS0_12_GLOBAL__N_130modified_bessel_i0_kernel_cudaERNS_18TensorIteratorBaseEENKUlvE_clEvENKUlvE0_clEvEUlfE_EEvS5_RKT_EUlibE_EEviT1_, .Lfunc_end17-_ZN2at6native32elementwise_kernel_manual_unrollILi128ELi4EZNS0_15gpu_kernel_implIZZZNS0_12_GLOBAL__N_130modified_bessel_i0_kernel_cudaERNS_18TensorIteratorBaseEENKUlvE_clEvENKUlvE0_clEvEUlfE_EEvS5_RKT_EUlibE_EEviT1_
                                        ; -- End function
	.set _ZN2at6native32elementwise_kernel_manual_unrollILi128ELi4EZNS0_15gpu_kernel_implIZZZNS0_12_GLOBAL__N_130modified_bessel_i0_kernel_cudaERNS_18TensorIteratorBaseEENKUlvE_clEvENKUlvE0_clEvEUlfE_EEvS5_RKT_EUlibE_EEviT1_.num_vgpr, 16
	.set _ZN2at6native32elementwise_kernel_manual_unrollILi128ELi4EZNS0_15gpu_kernel_implIZZZNS0_12_GLOBAL__N_130modified_bessel_i0_kernel_cudaERNS_18TensorIteratorBaseEENKUlvE_clEvENKUlvE0_clEvEUlfE_EEvS5_RKT_EUlibE_EEviT1_.num_agpr, 0
	.set _ZN2at6native32elementwise_kernel_manual_unrollILi128ELi4EZNS0_15gpu_kernel_implIZZZNS0_12_GLOBAL__N_130modified_bessel_i0_kernel_cudaERNS_18TensorIteratorBaseEENKUlvE_clEvENKUlvE0_clEvEUlfE_EEvS5_RKT_EUlibE_EEviT1_.numbered_sgpr, 26
	.set _ZN2at6native32elementwise_kernel_manual_unrollILi128ELi4EZNS0_15gpu_kernel_implIZZZNS0_12_GLOBAL__N_130modified_bessel_i0_kernel_cudaERNS_18TensorIteratorBaseEENKUlvE_clEvENKUlvE0_clEvEUlfE_EEvS5_RKT_EUlibE_EEviT1_.num_named_barrier, 0
	.set _ZN2at6native32elementwise_kernel_manual_unrollILi128ELi4EZNS0_15gpu_kernel_implIZZZNS0_12_GLOBAL__N_130modified_bessel_i0_kernel_cudaERNS_18TensorIteratorBaseEENKUlvE_clEvENKUlvE0_clEvEUlfE_EEvS5_RKT_EUlibE_EEviT1_.private_seg_size, 0
	.set _ZN2at6native32elementwise_kernel_manual_unrollILi128ELi4EZNS0_15gpu_kernel_implIZZZNS0_12_GLOBAL__N_130modified_bessel_i0_kernel_cudaERNS_18TensorIteratorBaseEENKUlvE_clEvENKUlvE0_clEvEUlfE_EEvS5_RKT_EUlibE_EEviT1_.uses_vcc, 1
	.set _ZN2at6native32elementwise_kernel_manual_unrollILi128ELi4EZNS0_15gpu_kernel_implIZZZNS0_12_GLOBAL__N_130modified_bessel_i0_kernel_cudaERNS_18TensorIteratorBaseEENKUlvE_clEvENKUlvE0_clEvEUlfE_EEvS5_RKT_EUlibE_EEviT1_.uses_flat_scratch, 0
	.set _ZN2at6native32elementwise_kernel_manual_unrollILi128ELi4EZNS0_15gpu_kernel_implIZZZNS0_12_GLOBAL__N_130modified_bessel_i0_kernel_cudaERNS_18TensorIteratorBaseEENKUlvE_clEvENKUlvE0_clEvEUlfE_EEvS5_RKT_EUlibE_EEviT1_.has_dyn_sized_stack, 0
	.set _ZN2at6native32elementwise_kernel_manual_unrollILi128ELi4EZNS0_15gpu_kernel_implIZZZNS0_12_GLOBAL__N_130modified_bessel_i0_kernel_cudaERNS_18TensorIteratorBaseEENKUlvE_clEvENKUlvE0_clEvEUlfE_EEvS5_RKT_EUlibE_EEviT1_.has_recursion, 0
	.set _ZN2at6native32elementwise_kernel_manual_unrollILi128ELi4EZNS0_15gpu_kernel_implIZZZNS0_12_GLOBAL__N_130modified_bessel_i0_kernel_cudaERNS_18TensorIteratorBaseEENKUlvE_clEvENKUlvE0_clEvEUlfE_EEvS5_RKT_EUlibE_EEviT1_.has_indirect_call, 0
	.section	.AMDGPU.csdata,"",@progbits
; Kernel info:
; codeLenInByte = 42640
; TotalNumSgprs: 28
; NumVgprs: 16
; ScratchSize: 0
; MemoryBound: 1
; FloatMode: 240
; IeeeMode: 1
; LDSByteSize: 0 bytes/workgroup (compile time only)
; SGPRBlocks: 0
; VGPRBlocks: 1
; NumSGPRsForWavesPerEU: 28
; NumVGPRsForWavesPerEU: 16
; Occupancy: 16
; WaveLimiterHint : 0
; COMPUTE_PGM_RSRC2:SCRATCH_EN: 0
; COMPUTE_PGM_RSRC2:USER_SGPR: 6
; COMPUTE_PGM_RSRC2:TRAP_HANDLER: 0
; COMPUTE_PGM_RSRC2:TGID_X_EN: 1
; COMPUTE_PGM_RSRC2:TGID_Y_EN: 0
; COMPUTE_PGM_RSRC2:TGID_Z_EN: 0
; COMPUTE_PGM_RSRC2:TIDIG_COMP_CNT: 0
	.section	.text._ZN2at6native32elementwise_kernel_manual_unrollILi128ELi4EZNS0_15gpu_kernel_implIZZZNS0_12_GLOBAL__N_130modified_bessel_i0_kernel_cudaERNS_18TensorIteratorBaseEENKUlvE_clEvENKUlvE0_clEvEUlfE_EEvS5_RKT_EUlibE0_EEviT1_,"axG",@progbits,_ZN2at6native32elementwise_kernel_manual_unrollILi128ELi4EZNS0_15gpu_kernel_implIZZZNS0_12_GLOBAL__N_130modified_bessel_i0_kernel_cudaERNS_18TensorIteratorBaseEENKUlvE_clEvENKUlvE0_clEvEUlfE_EEvS5_RKT_EUlibE0_EEviT1_,comdat
	.globl	_ZN2at6native32elementwise_kernel_manual_unrollILi128ELi4EZNS0_15gpu_kernel_implIZZZNS0_12_GLOBAL__N_130modified_bessel_i0_kernel_cudaERNS_18TensorIteratorBaseEENKUlvE_clEvENKUlvE0_clEvEUlfE_EEvS5_RKT_EUlibE0_EEviT1_ ; -- Begin function _ZN2at6native32elementwise_kernel_manual_unrollILi128ELi4EZNS0_15gpu_kernel_implIZZZNS0_12_GLOBAL__N_130modified_bessel_i0_kernel_cudaERNS_18TensorIteratorBaseEENKUlvE_clEvENKUlvE0_clEvEUlfE_EEvS5_RKT_EUlibE0_EEviT1_
	.p2align	8
	.type	_ZN2at6native32elementwise_kernel_manual_unrollILi128ELi4EZNS0_15gpu_kernel_implIZZZNS0_12_GLOBAL__N_130modified_bessel_i0_kernel_cudaERNS_18TensorIteratorBaseEENKUlvE_clEvENKUlvE0_clEvEUlfE_EEvS5_RKT_EUlibE0_EEviT1_,@function
_ZN2at6native32elementwise_kernel_manual_unrollILi128ELi4EZNS0_15gpu_kernel_implIZZZNS0_12_GLOBAL__N_130modified_bessel_i0_kernel_cudaERNS_18TensorIteratorBaseEENKUlvE_clEvENKUlvE0_clEvEUlfE_EEvS5_RKT_EUlibE0_EEviT1_: ; @_ZN2at6native32elementwise_kernel_manual_unrollILi128ELi4EZNS0_15gpu_kernel_implIZZZNS0_12_GLOBAL__N_130modified_bessel_i0_kernel_cudaERNS_18TensorIteratorBaseEENKUlvE_clEvENKUlvE0_clEvEUlfE_EEvS5_RKT_EUlibE0_EEviT1_
; %bb.0:
	s_clause 0x1
	s_load_dword s24, s[4:5], 0x8
	s_load_dword s33, s[4:5], 0x0
	v_lshl_or_b32 v8, s6, 9, v0
	s_add_u32 s2, s4, 8
	s_addc_u32 s3, s5, 0
	s_mov_b32 s1, -1
	s_mov_b32 s26, 0
	v_or_b32_e32 v15, 0x180, v8
	s_mov_b32 s12, 0
	s_mov_b32 s0, exec_lo
	s_waitcnt lgkmcnt(0)
	s_add_i32 s25, s24, -1
	s_cmp_gt_u32 s25, 1
	s_cselect_b32 s27, -1, 0
	v_cmpx_le_i32_e64 s33, v15
	s_xor_b32 s28, exec_lo, s0
	s_cbranch_execz .LBB18_1105
; %bb.1:
	v_mov_b32_e32 v0, 0
	s_clause 0x3
	s_load_dwordx4 s[16:19], s[2:3], 0x4
	s_load_dwordx2 s[6:7], s[2:3], 0x14
	s_load_dwordx4 s[12:15], s[2:3], 0xc4
	s_load_dwordx4 s[8:11], s[2:3], 0x148
	s_cmp_lg_u32 s24, 0
	s_mov_b32 s39, 0
	s_cselect_b32 s34, -1, 0
	global_load_ushort v0, v0, s[2:3] offset:345
	s_add_u32 s20, s2, 0xc4
	s_addc_u32 s21, s3, 0
	s_min_u32 s35, s25, 15
	s_cmp_gt_u32 s24, 1
	s_mov_b32 s37, 0
	s_cselect_b32 s31, -1, 0
	s_mov_b32 s36, 0
	s_mov_b32 s38, exec_lo
	s_waitcnt vmcnt(0)
	v_readfirstlane_b32 s29, v0
	s_and_b32 s0, 0xffff, s29
	s_lshr_b32 s30, s0, 8
	v_cmpx_gt_i32_e64 s33, v8
	s_cbranch_execz .LBB18_270
; %bb.2:
	s_andn2_b32 vcc_lo, exec_lo, s27
	s_cbranch_vccnz .LBB18_7
; %bb.3:
	s_andn2_b32 vcc_lo, exec_lo, s34
	s_cbranch_vccnz .LBB18_8
; %bb.4:
	s_add_i32 s37, s35, 1
	s_cmp_eq_u32 s25, 2
	s_cbranch_scc1 .LBB18_9
; %bb.5:
	v_mov_b32_e32 v2, 0
	v_mov_b32_e32 v0, 0
	;; [unrolled: 1-line block ×3, first 2 shown]
	s_and_b32 s36, s37, 28
	s_mov_b32 s40, 0
	s_mov_b64 s[0:1], s[2:3]
	s_mov_b64 s[22:23], s[20:21]
.LBB18_6:                               ; =>This Inner Loop Header: Depth=1
	s_clause 0x1
	s_load_dwordx8 s[44:51], s[0:1], 0x4
	s_load_dwordx4 s[60:63], s[0:1], 0x24
	s_load_dwordx8 s[52:59], s[22:23], 0x0
	s_add_u32 s0, s0, 48
	s_addc_u32 s1, s1, 0
	s_add_i32 s40, s40, 4
	s_add_u32 s22, s22, 32
	s_addc_u32 s23, s23, 0
	s_cmp_lg_u32 s36, s40
	s_waitcnt lgkmcnt(0)
	v_mul_hi_u32 v3, s45, v1
	v_add_nc_u32_e32 v3, v1, v3
	v_lshrrev_b32_e32 v3, s46, v3
	v_mul_hi_u32 v4, s48, v3
	v_mul_lo_u32 v6, v3, s44
	v_add_nc_u32_e32 v4, v3, v4
	v_sub_nc_u32_e32 v1, v1, v6
	v_lshrrev_b32_e32 v4, s49, v4
	v_mul_lo_u32 v6, v1, s52
	v_mul_lo_u32 v9, v1, s53
	v_mul_hi_u32 v5, s51, v4
	v_add_nc_u32_e32 v5, v4, v5
	v_lshrrev_b32_e32 v5, s60, v5
	v_mul_hi_u32 v7, s62, v5
	v_mul_lo_u32 v10, v5, s50
	v_add_nc_u32_e32 v1, v5, v7
	v_mul_lo_u32 v7, v4, s47
	v_sub_nc_u32_e32 v4, v4, v10
	v_lshrrev_b32_e32 v1, s63, v1
	v_mul_lo_u32 v10, v4, s56
	v_mul_lo_u32 v4, v4, s57
	v_sub_nc_u32_e32 v3, v3, v7
	v_mul_lo_u32 v11, v1, s61
	v_mul_lo_u32 v7, v3, s54
	;; [unrolled: 1-line block ×3, first 2 shown]
	v_sub_nc_u32_e32 v5, v5, v11
	v_add3_u32 v0, v6, v0, v7
	v_mul_lo_u32 v11, v5, s58
	v_mul_lo_u32 v5, v5, s59
	v_add3_u32 v2, v9, v2, v3
	v_add3_u32 v0, v10, v0, v11
	;; [unrolled: 1-line block ×3, first 2 shown]
	s_cbranch_scc1 .LBB18_6
	s_branch .LBB18_10
.LBB18_7:
                                        ; implicit-def: $vgpr0
                                        ; implicit-def: $vgpr2
	s_branch .LBB18_14
.LBB18_8:
	v_mov_b32_e32 v0, 0
	v_mov_b32_e32 v2, 0
	s_branch .LBB18_13
.LBB18_9:
	v_mov_b32_e32 v0, 0
	v_mov_b32_e32 v2, 0
	;; [unrolled: 1-line block ×3, first 2 shown]
.LBB18_10:
	s_and_b32 s37, s37, 3
	s_cmp_eq_u32 s37, 0
	s_cbranch_scc1 .LBB18_13
; %bb.11:
	s_lshl_b32 s0, s36, 3
	s_mul_i32 s22, s36, 12
	s_add_u32 s0, s2, s0
	s_addc_u32 s1, s3, 0
	s_add_u32 s0, s0, 0xc4
	s_addc_u32 s1, s1, 0
	;; [unrolled: 2-line block ×3, first 2 shown]
	.p2align	6
.LBB18_12:                              ; =>This Inner Loop Header: Depth=1
	s_clause 0x1
	s_load_dwordx2 s[40:41], s[22:23], 0x4
	s_load_dword s36, s[22:23], 0xc
	s_load_dwordx2 s[42:43], s[0:1], 0x0
	s_add_u32 s22, s22, 12
	s_addc_u32 s23, s23, 0
	s_add_u32 s0, s0, 8
	s_addc_u32 s1, s1, 0
	s_add_i32 s37, s37, -1
	s_cmp_lg_u32 s37, 0
	s_waitcnt lgkmcnt(0)
	v_mul_hi_u32 v3, s41, v1
	v_add_nc_u32_e32 v3, v1, v3
	v_lshrrev_b32_e32 v4, s36, v3
	v_mul_lo_u32 v3, v4, s40
	v_sub_nc_u32_e32 v3, v1, v3
	v_mad_u64_u32 v[0:1], null, v3, s42, v[0:1]
	v_mad_u64_u32 v[2:3], null, v3, s43, v[2:3]
	v_mov_b32_e32 v1, v4
	s_cbranch_scc1 .LBB18_12
.LBB18_13:
	s_cbranch_execnz .LBB18_16
.LBB18_14:
	s_waitcnt lgkmcnt(0)
	v_mul_hi_u32 v0, s17, v8
	s_andn2_b32 vcc_lo, exec_lo, s31
	v_add_nc_u32_e32 v0, v8, v0
	v_lshrrev_b32_e32 v1, s18, v0
	v_mul_lo_u32 v0, v1, s16
	v_sub_nc_u32_e32 v2, v8, v0
	v_mul_lo_u32 v0, v2, s12
	v_mul_lo_u32 v2, v2, s13
	s_cbranch_vccnz .LBB18_16
; %bb.15:
	v_mul_hi_u32 v3, s6, v1
	v_add_nc_u32_e32 v3, v1, v3
	v_lshrrev_b32_e32 v3, s7, v3
	v_mul_lo_u32 v3, v3, s19
	v_sub_nc_u32_e32 v3, v1, v3
	v_mad_u64_u32 v[0:1], null, v3, s14, v[0:1]
	v_mad_u64_u32 v[2:3], null, v3, s15, v[2:3]
.LBB18_16:
	s_waitcnt lgkmcnt(0)
	v_add_co_u32 v1, s0, s10, v2
	v_add_co_ci_u32_e64 v2, null, s11, 0, s0
	s_and_b32 s0, 0xffff, s30
	s_cmp_lt_i32 s0, 11
	s_cbranch_scc1 .LBB18_23
; %bb.17:
	s_cmp_gt_i32 s0, 25
	s_cbranch_scc0 .LBB18_36
; %bb.18:
	s_cmp_gt_i32 s0, 28
	s_cbranch_scc0 .LBB18_39
	;; [unrolled: 3-line block ×4, first 2 shown]
; %bb.21:
	s_cmp_eq_u32 s0, 46
	s_mov_b32 s23, 0
	s_cbranch_scc0 .LBB18_45
; %bb.22:
	global_load_dword v3, v[1:2], off
	s_mov_b32 s22, -1
	s_mov_b32 s1, 0
	s_waitcnt vmcnt(0)
	v_lshlrev_b32_e32 v3, 16, v3
	s_branch .LBB18_47
.LBB18_23:
	s_mov_b32 s1, 0
	s_mov_b32 s22, 0
                                        ; implicit-def: $vgpr3
	s_cbranch_execnz .LBB18_220
.LBB18_24:
	s_andn2_b32 vcc_lo, exec_lo, s22
	s_cbranch_vccnz .LBB18_267
.LBB18_25:
	s_waitcnt vmcnt(0)
	v_cmp_ge_f32_e64 s0, 0x41000000, |v3|
                                        ; implicit-def: $vgpr1
	s_and_saveexec_b32 s22, s0
	s_xor_b32 s0, exec_lo, s22
	s_cbranch_execz .LBB18_27
; %bb.26:
	v_fma_f32 v1, |v3|, 0.5, -2.0
	s_mov_b32 s22, 0xa2a2e5b9
	v_mul_f32_e64 v5, 0x3fb8aa3b, |v3|
	v_cmp_ngt_f32_e64 vcc_lo, 0xc2ce8ed0, |v3|
	v_fmaak_f32 v2, s22, v1, 0x24199b15
	v_rndne_f32_e32 v6, v5
	v_fma_f32 v7, 0x3fb8aa3b, |v3|, -v5
	v_fmaak_f32 v4, v1, v2, 0x22a2e5b9
	v_sub_f32_e32 v5, v5, v6
	v_fma_f32 v7, 0x32a5705f, |v3|, v7
	v_cvt_i32_f32_e32 v6, v6
	v_add_f32_e32 v4, 0xa58c275c, v4
	v_add_f32_e32 v5, v5, v7
	v_fma_f32 v2, v1, v4, -v2
	v_exp_f32_e32 v5, v5
	v_add_f32_e32 v2, 0x26f736c5, v2
	v_fma_f32 v4, v1, v2, -v4
	v_add_f32_e32 v4, 0xa8528116, v4
	v_fma_f32 v2, v1, v4, -v2
	;; [unrolled: 2-line block ×26, first 2 shown]
	v_ldexp_f32 v4, v5, v6
	v_add_f32_e32 v1, 0x3f2d4275, v1
	v_cndmask_b32_e32 v4, 0, v4, vcc_lo
	v_cmp_nlt_f32_e64 vcc_lo, 0x42b17218, |v3|
                                        ; implicit-def: $vgpr3
	v_sub_f32_e32 v1, v1, v2
	v_cndmask_b32_e32 v2, 0x7f800000, v4, vcc_lo
	v_mul_f32_e32 v1, 0.5, v1
	v_mul_f32_e32 v1, v2, v1
.LBB18_27:
	s_andn2_saveexec_b32 s22, s0
	s_cbranch_execz .LBB18_29
; %bb.28:
	v_and_b32_e32 v1, 0x7fffffff, v3
	s_mov_b32 s0, 0xa3056dbb
	v_div_scale_f32 v2, null, v1, v1, 0x42000000
	v_div_scale_f32 v1, vcc_lo, 0x42000000, v1, 0x42000000
	v_rcp_f32_e32 v4, v2
	v_fma_f32 v5, -v2, v4, 1.0
	v_fmac_f32_e32 v4, v5, v4
	v_mul_f32_e32 v5, v1, v4
	v_fma_f32 v6, -v2, v5, v1
	v_fmac_f32_e32 v5, v6, v4
	v_mul_f32_e64 v6, 0x3fb8aa3b, |v3|
	v_fma_f32 v1, -v2, v5, v1
	v_rndne_f32_e32 v7, v6
	v_fma_f32 v9, 0x3fb8aa3b, |v3|, -v6
	v_div_fmas_f32 v1, v1, v4, v5
	v_mul_f32_e64 v5, 0x4f800000, |v3|
	v_cmp_gt_f32_e64 vcc_lo, 0xf800000, |v3|
	v_sub_f32_e32 v6, v6, v7
	v_fma_f32 v9, 0x32a5705f, |v3|, v9
	v_div_fixup_f32 v1, v1, |v3|, 0x42000000
	v_cvt_i32_f32_e32 v7, v7
	v_cndmask_b32_e64 v5, |v3|, v5, vcc_lo
	v_add_f32_e32 v6, v6, v9
	v_add_f32_e32 v1, -2.0, v1
	v_sqrt_f32_e32 v10, v5
	v_exp_f32_e32 v6, v6
	v_fmaak_f32 v2, s0, v1, 0xa2b236d3
	v_fmaak_f32 v4, v1, v2, 0x23056dbb
	v_add_nc_u32_e32 v9, -1, v10
	v_add_nc_u32_e32 v11, 1, v10
	v_add_f32_e32 v4, 0x244df0c1, v4
	v_fma_f32 v12, -v9, v10, v5
	v_fma_f32 v13, -v11, v10, v5
	v_fma_f32 v2, v1, v4, -v2
	v_cmp_ge_f32_e64 s0, 0, v12
	v_add_f32_e32 v2, 0x241f9ee8, v2
	v_cndmask_b32_e64 v9, v10, v9, s0
	v_cmp_lt_f32_e64 s0, 0, v13
	v_fma_f32 v4, v1, v2, -v4
	v_add_f32_e32 v4, 0xa5a3005d, v4
	v_fma_f32 v2, v1, v4, -v2
	v_add_f32_e32 v2, 0xa5c5773f, v2
	;; [unrolled: 2-line block ×20, first 2 shown]
	v_fma_f32 v1, v1, v2, -v4
	v_ldexp_f32 v2, v6, v7
	v_cndmask_b32_e64 v6, v9, v11, s0
	v_cmp_ngt_f32_e64 s0, 0xc2ce8ed0, |v3|
	v_add_f32_e32 v1, 0x3f4df315, v1
	v_mul_f32_e32 v7, 0x37800000, v6
	v_cndmask_b32_e64 v2, 0, v2, s0
	v_cmp_nlt_f32_e64 s0, 0x42b17218, |v3|
	v_sub_f32_e32 v1, v1, v4
	v_cndmask_b32_e32 v3, v6, v7, vcc_lo
	v_cmp_class_f32_e64 vcc_lo, v5, 0x260
	v_cndmask_b32_e64 v2, 0x7f800000, v2, s0
	v_mul_f32_e32 v1, 0.5, v1
	v_cndmask_b32_e32 v3, v3, v5, vcc_lo
	v_mul_f32_e32 v1, v2, v1
	v_div_scale_f32 v2, null, v3, v3, v1
	v_rcp_f32_e32 v4, v2
	v_fma_f32 v5, -v2, v4, 1.0
	v_fmac_f32_e32 v4, v5, v4
	v_div_scale_f32 v5, vcc_lo, v1, v3, v1
	v_mul_f32_e32 v6, v5, v4
	v_fma_f32 v7, -v2, v6, v5
	v_fmac_f32_e32 v6, v7, v4
	v_fma_f32 v2, -v2, v6, v5
	v_div_fmas_f32 v2, v2, v4, v6
	v_div_fixup_f32 v1, v2, v3, v1
.LBB18_29:
	s_or_b32 exec_lo, exec_lo, s22
	v_add_co_u32 v3, s0, s8, v0
	v_add_co_ci_u32_e64 v4, null, s9, 0, s0
	s_and_b32 s22, s29, 0xff
	s_cmp_lt_i32 s22, 11
	s_cbranch_scc1 .LBB18_37
; %bb.30:
	s_and_b32 s23, 0xffff, s22
	s_cmp_gt_i32 s23, 25
	s_cbranch_scc0 .LBB18_40
; %bb.31:
	s_cmp_gt_i32 s23, 28
	s_cbranch_scc0 .LBB18_42
; %bb.32:
	;; [unrolled: 3-line block ×4, first 2 shown]
	s_mov_b32 s37, 0
	s_mov_b32 s0, -1
	s_cmp_eq_u32 s23, 46
	s_mov_b32 s36, 0
	s_cbranch_scc0 .LBB18_51
; %bb.35:
	v_bfe_u32 v0, v1, 16, 1
	v_cmp_o_f32_e32 vcc_lo, v1, v1
	v_mov_b32_e32 v2, 0x7fc0
	s_mov_b32 s36, -1
	s_mov_b32 s0, 0
	v_add3_u32 v0, v1, v0, 0x7fff
	v_cndmask_b32_sdwa v0, v2, v0, vcc_lo dst_sel:DWORD dst_unused:UNUSED_PAD src0_sel:DWORD src1_sel:WORD_1
	global_store_dword v[3:4], v0, off
	s_branch .LBB18_51
.LBB18_36:
	s_mov_b32 s1, 0
	s_mov_b32 s22, 0
                                        ; implicit-def: $vgpr3
	s_cbranch_execnz .LBB18_185
	s_branch .LBB18_219
.LBB18_37:
	s_mov_b32 s0, 0
	s_mov_b32 s36, 0
	s_cbranch_execnz .LBB18_120
.LBB18_38:
	s_andn2_b32 vcc_lo, exec_lo, s36
	s_cbranch_vccz .LBB18_158
	s_branch .LBB18_268
.LBB18_39:
	s_mov_b32 s23, -1
	s_mov_b32 s1, 0
	s_mov_b32 s22, 0
                                        ; implicit-def: $vgpr3
	s_branch .LBB18_166
.LBB18_40:
	s_mov_b32 s37, -1
	s_mov_b32 s0, 0
	s_mov_b32 s36, 0
	s_branch .LBB18_78
.LBB18_41:
	s_mov_b32 s23, -1
	s_mov_b32 s1, 0
	s_mov_b32 s22, 0
                                        ; implicit-def: $vgpr3
	s_branch .LBB18_161
.LBB18_42:
	s_mov_b32 s37, -1
	s_mov_b32 s0, 0
	s_mov_b32 s36, 0
	s_branch .LBB18_61
.LBB18_43:
	s_mov_b32 s23, -1
	s_mov_b32 s1, 0
	s_branch .LBB18_46
.LBB18_44:
	s_mov_b32 s37, -1
	s_mov_b32 s0, 0
	s_mov_b32 s36, 0
	s_branch .LBB18_57
.LBB18_45:
	s_mov_b32 s1, -1
.LBB18_46:
	s_mov_b32 s22, 0
                                        ; implicit-def: $vgpr3
.LBB18_47:
	s_and_b32 vcc_lo, exec_lo, s23
	s_cbranch_vccz .LBB18_160
; %bb.48:
	s_cmp_eq_u32 s0, 44
	s_cbranch_scc0 .LBB18_159
; %bb.49:
	global_load_ubyte v3, v[1:2], off
	s_mov_b32 s1, 0
	s_mov_b32 s22, -1
	s_waitcnt vmcnt(0)
	v_lshlrev_b32_e32 v4, 23, v3
	v_cmp_ne_u32_e32 vcc_lo, 0xff, v3
	v_cndmask_b32_e32 v4, 0x7f800001, v4, vcc_lo
	v_cmp_ne_u32_e32 vcc_lo, 0, v3
	v_cndmask_b32_e32 v3, 0x400000, v4, vcc_lo
	s_branch .LBB18_160
.LBB18_50:
	s_mov_b32 s37, -1
	s_mov_b32 s0, 0
	s_mov_b32 s36, 0
.LBB18_51:
	s_and_b32 vcc_lo, exec_lo, s37
	s_cbranch_vccz .LBB18_56
; %bb.52:
	s_cmp_eq_u32 s23, 44
	s_mov_b32 s0, -1
	s_cbranch_scc0 .LBB18_56
; %bb.53:
	v_bfe_u32 v2, v1, 23, 8
	v_mov_b32_e32 v0, 0xff
	s_mov_b32 s36, exec_lo
	v_cmpx_ne_u32_e32 0xff, v2
	s_cbranch_execz .LBB18_55
; %bb.54:
	v_and_b32_e32 v0, 0x400000, v1
	v_and_or_b32 v2, 0x3fffff, v1, v2
	v_cmp_ne_u32_e32 vcc_lo, 0, v0
	v_cmp_ne_u32_e64 s0, 0, v2
	v_lshrrev_b32_e32 v0, 23, v1
	s_and_b32 s0, vcc_lo, s0
	v_cndmask_b32_e64 v2, 0, 1, s0
	v_add_nc_u32_e32 v0, v0, v2
.LBB18_55:
	s_or_b32 exec_lo, exec_lo, s36
	s_mov_b32 s36, -1
	s_mov_b32 s0, 0
	global_store_byte v[3:4], v0, off
.LBB18_56:
	s_mov_b32 s37, 0
.LBB18_57:
	s_and_b32 vcc_lo, exec_lo, s37
	s_cbranch_vccz .LBB18_60
; %bb.58:
	s_cmp_eq_u32 s23, 29
	s_mov_b32 s0, -1
	s_cbranch_scc0 .LBB18_60
; %bb.59:
	v_trunc_f32_e32 v0, v1
	s_mov_b32 s36, -1
	s_mov_b32 s0, 0
	s_mov_b32 s37, 0
	v_mul_f32_e32 v2, 0x2f800000, v0
	v_floor_f32_e32 v2, v2
	v_fmamk_f32 v0, v2, 0xcf800000, v0
	v_cvt_u32_f32_e32 v6, v2
	v_cvt_u32_f32_e32 v5, v0
	global_store_dwordx2 v[3:4], v[5:6], off
	s_branch .LBB18_61
.LBB18_60:
	s_mov_b32 s37, 0
.LBB18_61:
	s_and_b32 vcc_lo, exec_lo, s37
	s_cbranch_vccz .LBB18_77
; %bb.62:
	s_cmp_lt_i32 s23, 27
	s_mov_b32 s36, -1
	s_cbranch_scc1 .LBB18_68
; %bb.63:
	v_cvt_u32_f32_e32 v0, v1
	s_cmp_gt_i32 s23, 27
	s_cbranch_scc0 .LBB18_65
; %bb.64:
	s_mov_b32 s36, 0
	global_store_dword v[3:4], v0, off
.LBB18_65:
	s_andn2_b32 vcc_lo, exec_lo, s36
	s_cbranch_vccnz .LBB18_67
; %bb.66:
	global_store_short v[3:4], v0, off
.LBB18_67:
	s_mov_b32 s36, 0
.LBB18_68:
	s_andn2_b32 vcc_lo, exec_lo, s36
	s_cbranch_vccnz .LBB18_76
; %bb.69:
	v_and_b32_e32 v0, 0x7fffffff, v1
	v_mov_b32_e32 v2, 0x80
	s_mov_b32 s36, exec_lo
	v_cmpx_gt_u32_e32 0x43800000, v0
	s_cbranch_execz .LBB18_75
; %bb.70:
	v_cmp_lt_u32_e32 vcc_lo, 0x3bffffff, v0
	s_mov_b32 s37, 0
                                        ; implicit-def: $vgpr0
	s_and_saveexec_b32 s40, vcc_lo
	s_xor_b32 s40, exec_lo, s40
	s_cbranch_execz .LBB18_315
; %bb.71:
	v_bfe_u32 v0, v1, 20, 1
	s_mov_b32 s37, exec_lo
	v_add3_u32 v0, v1, v0, 0x487ffff
	v_lshrrev_b32_e32 v0, 20, v0
	s_andn2_saveexec_b32 s40, s40
	s_cbranch_execnz .LBB18_316
.LBB18_72:
	s_or_b32 exec_lo, exec_lo, s40
	v_mov_b32_e32 v2, 0
	s_and_saveexec_b32 s40, s37
.LBB18_73:
	v_lshrrev_b32_e32 v2, 24, v1
	v_and_or_b32 v2, 0x80, v2, v0
.LBB18_74:
	s_or_b32 exec_lo, exec_lo, s40
.LBB18_75:
	s_or_b32 exec_lo, exec_lo, s36
	global_store_byte v[3:4], v2, off
.LBB18_76:
	s_mov_b32 s36, -1
.LBB18_77:
	s_mov_b32 s37, 0
.LBB18_78:
	s_and_b32 vcc_lo, exec_lo, s37
	s_cbranch_vccz .LBB18_119
; %bb.79:
	s_cmp_gt_i32 s23, 22
	s_mov_b32 s37, -1
	s_cbranch_scc0 .LBB18_111
; %bb.80:
	s_cmp_lt_i32 s23, 24
	s_mov_b32 s36, -1
	s_cbranch_scc1 .LBB18_100
; %bb.81:
	s_cmp_gt_i32 s23, 24
	s_cbranch_scc0 .LBB18_89
; %bb.82:
	v_and_b32_e32 v0, 0x7fffffff, v1
	v_mov_b32_e32 v2, 0x80
	s_mov_b32 s36, exec_lo
	v_cmpx_gt_u32_e32 0x47800000, v0
	s_cbranch_execz .LBB18_88
; %bb.83:
	v_cmp_lt_u32_e32 vcc_lo, 0x37ffffff, v0
	s_mov_b32 s37, 0
                                        ; implicit-def: $vgpr0
	s_and_saveexec_b32 s40, vcc_lo
	s_xor_b32 s40, exec_lo, s40
	s_cbranch_execz .LBB18_319
; %bb.84:
	v_bfe_u32 v0, v1, 21, 1
	s_mov_b32 s37, exec_lo
	v_add3_u32 v0, v1, v0, 0x88fffff
	v_lshrrev_b32_e32 v0, 21, v0
	s_andn2_saveexec_b32 s40, s40
	s_cbranch_execnz .LBB18_320
.LBB18_85:
	s_or_b32 exec_lo, exec_lo, s40
	v_mov_b32_e32 v2, 0
	s_and_saveexec_b32 s40, s37
.LBB18_86:
	v_lshrrev_b32_e32 v2, 24, v1
	v_and_or_b32 v2, 0x80, v2, v0
.LBB18_87:
	s_or_b32 exec_lo, exec_lo, s40
.LBB18_88:
	s_or_b32 exec_lo, exec_lo, s36
	s_mov_b32 s36, 0
	global_store_byte v[3:4], v2, off
.LBB18_89:
	s_and_b32 vcc_lo, exec_lo, s36
	s_cbranch_vccz .LBB18_99
; %bb.90:
	v_and_b32_e32 v2, 0x7fffffff, v1
	s_mov_b32 s36, exec_lo
                                        ; implicit-def: $vgpr0
	v_cmpx_gt_u32_e32 0x43f00000, v2
	s_xor_b32 s36, exec_lo, s36
	s_cbranch_execz .LBB18_96
; %bb.91:
	s_mov_b32 s37, exec_lo
                                        ; implicit-def: $vgpr0
	v_cmpx_lt_u32_e32 0x3c7fffff, v2
	s_xor_b32 s37, exec_lo, s37
; %bb.92:
	v_bfe_u32 v0, v1, 20, 1
	v_add3_u32 v0, v1, v0, 0x407ffff
	v_and_b32_e32 v2, 0xff00000, v0
	v_lshrrev_b32_e32 v0, 20, v0
	v_cmp_ne_u32_e32 vcc_lo, 0x7f00000, v2
	v_cndmask_b32_e32 v0, 0x7e, v0, vcc_lo
; %bb.93:
	s_andn2_saveexec_b32 s37, s37
; %bb.94:
	v_add_f32_e64 v0, 0x46800000, |v1|
; %bb.95:
	s_or_b32 exec_lo, exec_lo, s37
                                        ; implicit-def: $vgpr2
.LBB18_96:
	s_andn2_saveexec_b32 s36, s36
; %bb.97:
	v_mov_b32_e32 v0, 0x7f
	v_cmp_lt_u32_e32 vcc_lo, 0x7f800000, v2
	v_cndmask_b32_e32 v0, 0x7e, v0, vcc_lo
; %bb.98:
	s_or_b32 exec_lo, exec_lo, s36
	v_lshrrev_b32_e32 v2, 24, v1
	v_and_or_b32 v0, 0x80, v2, v0
	global_store_byte v[3:4], v0, off
.LBB18_99:
	s_mov_b32 s36, 0
.LBB18_100:
	s_andn2_b32 vcc_lo, exec_lo, s36
	s_cbranch_vccnz .LBB18_110
; %bb.101:
	v_and_b32_e32 v2, 0x7fffffff, v1
	s_mov_b32 s36, exec_lo
                                        ; implicit-def: $vgpr0
	v_cmpx_gt_u32_e32 0x47800000, v2
	s_xor_b32 s36, exec_lo, s36
	s_cbranch_execz .LBB18_107
; %bb.102:
	s_mov_b32 s37, exec_lo
                                        ; implicit-def: $vgpr0
	v_cmpx_lt_u32_e32 0x387fffff, v2
	s_xor_b32 s37, exec_lo, s37
; %bb.103:
	v_bfe_u32 v0, v1, 21, 1
	v_add3_u32 v0, v1, v0, 0x80fffff
	v_lshrrev_b32_e32 v0, 21, v0
; %bb.104:
	s_andn2_saveexec_b32 s37, s37
; %bb.105:
	v_add_f32_e64 v0, 0x43000000, |v1|
; %bb.106:
	s_or_b32 exec_lo, exec_lo, s37
                                        ; implicit-def: $vgpr2
.LBB18_107:
	s_andn2_saveexec_b32 s36, s36
; %bb.108:
	v_mov_b32_e32 v0, 0x7f
	v_cmp_lt_u32_e32 vcc_lo, 0x7f800000, v2
	v_cndmask_b32_e32 v0, 0x7c, v0, vcc_lo
; %bb.109:
	s_or_b32 exec_lo, exec_lo, s36
	v_lshrrev_b32_e32 v2, 24, v1
	v_and_or_b32 v0, 0x80, v2, v0
	global_store_byte v[3:4], v0, off
.LBB18_110:
	s_mov_b32 s37, 0
	s_mov_b32 s36, -1
.LBB18_111:
	s_andn2_b32 vcc_lo, exec_lo, s37
	s_cbranch_vccnz .LBB18_119
; %bb.112:
	s_cmp_gt_i32 s23, 14
	s_mov_b32 s37, -1
	s_cbranch_scc0 .LBB18_116
; %bb.113:
	s_cmp_eq_u32 s23, 15
	s_mov_b32 s0, -1
	s_cbranch_scc0 .LBB18_115
; %bb.114:
	v_bfe_u32 v0, v1, 16, 1
	v_cmp_o_f32_e32 vcc_lo, v1, v1
	v_mov_b32_e32 v2, 0x7fc0
	s_mov_b32 s36, -1
	s_mov_b32 s0, 0
	v_add3_u32 v0, v1, v0, 0x7fff
	v_cndmask_b32_sdwa v0, v2, v0, vcc_lo dst_sel:DWORD dst_unused:UNUSED_PAD src0_sel:DWORD src1_sel:WORD_1
	global_store_short v[3:4], v0, off
.LBB18_115:
	s_mov_b32 s37, 0
.LBB18_116:
	s_and_b32 vcc_lo, exec_lo, s37
	s_cbranch_vccz .LBB18_119
; %bb.117:
	s_cmp_eq_u32 s23, 11
	s_mov_b32 s0, -1
	s_cbranch_scc0 .LBB18_119
; %bb.118:
	v_cmp_neq_f32_e32 vcc_lo, 0, v1
	s_mov_b32 s0, 0
	s_mov_b32 s36, -1
	v_cndmask_b32_e64 v0, 0, 1, vcc_lo
	global_store_byte v[3:4], v0, off
.LBB18_119:
	s_branch .LBB18_38
.LBB18_120:
	s_and_b32 s22, 0xffff, s22
	s_mov_b32 s23, -1
	s_cmp_lt_i32 s22, 5
	s_cbranch_scc1 .LBB18_141
; %bb.121:
	s_cmp_lt_i32 s22, 8
	s_cbranch_scc1 .LBB18_131
; %bb.122:
	;; [unrolled: 3-line block ×3, first 2 shown]
	s_cmp_gt_i32 s22, 9
	s_cbranch_scc0 .LBB18_125
; %bb.124:
	v_cvt_f64_f32_e32 v[9:10], v1
	v_mov_b32_e32 v11, 0
	s_mov_b32 s23, 0
	v_mov_b32_e32 v12, v11
	global_store_dwordx4 v[3:4], v[9:12], off
.LBB18_125:
	s_andn2_b32 vcc_lo, exec_lo, s23
	s_cbranch_vccnz .LBB18_127
; %bb.126:
	v_mov_b32_e32 v2, 0
	global_store_dwordx2 v[3:4], v[1:2], off
.LBB18_127:
	s_mov_b32 s23, 0
.LBB18_128:
	s_andn2_b32 vcc_lo, exec_lo, s23
	s_cbranch_vccnz .LBB18_130
; %bb.129:
	v_cvt_f16_f32_e32 v0, v1
	v_and_b32_e32 v0, 0xffff, v0
	global_store_dword v[3:4], v0, off
.LBB18_130:
	s_mov_b32 s23, 0
.LBB18_131:
	s_andn2_b32 vcc_lo, exec_lo, s23
	s_cbranch_vccnz .LBB18_140
; %bb.132:
	s_cmp_lt_i32 s22, 6
	s_mov_b32 s23, -1
	s_cbranch_scc1 .LBB18_138
; %bb.133:
	s_cmp_gt_i32 s22, 6
	s_cbranch_scc0 .LBB18_135
; %bb.134:
	v_cvt_f64_f32_e32 v[5:6], v1
	s_mov_b32 s23, 0
	global_store_dwordx2 v[3:4], v[5:6], off
.LBB18_135:
	s_andn2_b32 vcc_lo, exec_lo, s23
	s_cbranch_vccnz .LBB18_137
; %bb.136:
	global_store_dword v[3:4], v1, off
.LBB18_137:
	s_mov_b32 s23, 0
.LBB18_138:
	s_andn2_b32 vcc_lo, exec_lo, s23
	s_cbranch_vccnz .LBB18_140
; %bb.139:
	v_cvt_f16_f32_e32 v0, v1
	global_store_short v[3:4], v0, off
.LBB18_140:
	s_mov_b32 s23, 0
.LBB18_141:
	s_andn2_b32 vcc_lo, exec_lo, s23
	s_cbranch_vccnz .LBB18_157
; %bb.142:
	s_cmp_lt_i32 s22, 2
	s_mov_b32 s23, -1
	s_cbranch_scc1 .LBB18_152
; %bb.143:
	s_cmp_lt_i32 s22, 3
	s_cbranch_scc1 .LBB18_149
; %bb.144:
	s_cmp_gt_i32 s22, 3
	s_cbranch_scc0 .LBB18_146
; %bb.145:
	v_trunc_f32_e32 v0, v1
	s_mov_b32 s23, 0
	v_mul_f32_e64 v2, 0x2f800000, |v0|
	v_floor_f32_e32 v2, v2
	v_fma_f32 v5, 0xcf800000, v2, |v0|
	v_ashrrev_i32_e32 v0, 31, v0
	v_cvt_u32_f32_e32 v2, v2
	v_cvt_u32_f32_e32 v5, v5
	v_xor_b32_e32 v2, v2, v0
	v_xor_b32_e32 v5, v5, v0
	v_sub_co_u32 v5, vcc_lo, v5, v0
	v_sub_co_ci_u32_e64 v6, null, v2, v0, vcc_lo
	global_store_dwordx2 v[3:4], v[5:6], off
.LBB18_146:
	s_andn2_b32 vcc_lo, exec_lo, s23
	s_cbranch_vccnz .LBB18_148
; %bb.147:
	v_cvt_i32_f32_e32 v0, v1
	global_store_dword v[3:4], v0, off
.LBB18_148:
	s_mov_b32 s23, 0
.LBB18_149:
	s_andn2_b32 vcc_lo, exec_lo, s23
	s_cbranch_vccnz .LBB18_151
; %bb.150:
	v_cvt_i32_f32_e32 v0, v1
	global_store_short v[3:4], v0, off
.LBB18_151:
	s_mov_b32 s23, 0
.LBB18_152:
	s_andn2_b32 vcc_lo, exec_lo, s23
	s_cbranch_vccnz .LBB18_157
; %bb.153:
	s_cmp_gt_i32 s22, 0
	s_mov_b32 s22, -1
	s_cbranch_scc0 .LBB18_155
; %bb.154:
	v_cvt_i32_f32_e32 v0, v1
	s_mov_b32 s22, 0
	global_store_byte v[3:4], v0, off
.LBB18_155:
	s_andn2_b32 vcc_lo, exec_lo, s22
	s_cbranch_vccnz .LBB18_157
; %bb.156:
	v_trunc_f32_e32 v0, v1
	v_mul_f32_e64 v1, 0x2f800000, |v0|
	v_floor_f32_e32 v1, v1
	v_fma_f32 v1, 0xcf800000, v1, |v0|
	v_ashrrev_i32_e32 v0, 31, v0
	v_cvt_u32_f32_e32 v1, v1
	v_xor_b32_e32 v1, v1, v0
	v_sub_nc_u32_e32 v0, v1, v0
	global_store_byte v[3:4], v0, off
.LBB18_157:
.LBB18_158:
	v_add_nc_u32_e32 v8, 0x80, v8
	s_mov_b32 s22, -1
	s_branch .LBB18_269
.LBB18_159:
	s_mov_b32 s1, -1
                                        ; implicit-def: $vgpr3
.LBB18_160:
	s_mov_b32 s23, 0
.LBB18_161:
	s_and_b32 vcc_lo, exec_lo, s23
	s_cbranch_vccz .LBB18_165
; %bb.162:
	s_cmp_eq_u32 s0, 29
	s_cbranch_scc0 .LBB18_164
; %bb.163:
	global_load_dwordx2 v[3:4], v[1:2], off
	s_mov_b32 s22, -1
	s_mov_b32 s1, 0
	s_mov_b32 s23, 0
	s_waitcnt vmcnt(0)
	v_ffbh_u32_e32 v5, v4
	v_min_u32_e32 v5, 32, v5
	v_lshlrev_b64 v[3:4], v5, v[3:4]
	v_min_u32_e32 v3, 1, v3
	v_or_b32_e32 v3, v4, v3
	v_sub_nc_u32_e32 v4, 32, v5
	v_cvt_f32_u32_e32 v3, v3
	v_ldexp_f32 v3, v3, v4
	s_branch .LBB18_166
.LBB18_164:
	s_mov_b32 s1, -1
                                        ; implicit-def: $vgpr3
.LBB18_165:
	s_mov_b32 s23, 0
.LBB18_166:
	s_and_b32 vcc_lo, exec_lo, s23
	s_cbranch_vccz .LBB18_184
; %bb.167:
	s_cmp_lt_i32 s0, 27
	s_cbranch_scc1 .LBB18_170
; %bb.168:
	s_cmp_gt_i32 s0, 27
	s_cbranch_scc0 .LBB18_171
; %bb.169:
	global_load_dword v3, v[1:2], off
	s_mov_b32 s22, 0
	s_waitcnt vmcnt(0)
	v_cvt_f32_u32_e32 v3, v3
	s_branch .LBB18_172
.LBB18_170:
	s_mov_b32 s22, -1
                                        ; implicit-def: $vgpr3
	s_branch .LBB18_175
.LBB18_171:
	s_mov_b32 s22, -1
                                        ; implicit-def: $vgpr3
.LBB18_172:
	s_andn2_b32 vcc_lo, exec_lo, s22
	s_cbranch_vccnz .LBB18_174
; %bb.173:
	global_load_ushort v3, v[1:2], off
	s_waitcnt vmcnt(0)
	v_cvt_f32_u32_e32 v3, v3
.LBB18_174:
	s_mov_b32 s22, 0
.LBB18_175:
	s_andn2_b32 vcc_lo, exec_lo, s22
	s_cbranch_vccnz .LBB18_183
; %bb.176:
	global_load_ubyte v4, v[1:2], off
	s_mov_b32 s22, 0
	s_mov_b32 s23, exec_lo
	s_waitcnt vmcnt(0)
	v_cmpx_lt_i16_e32 0x7f, v4
	s_xor_b32 s23, exec_lo, s23
	s_cbranch_execz .LBB18_196
; %bb.177:
	s_mov_b32 s22, -1
	s_mov_b32 s36, exec_lo
	v_cmpx_eq_u16_e32 0x80, v4
; %bb.178:
	s_xor_b32 s22, exec_lo, -1
; %bb.179:
	s_or_b32 exec_lo, exec_lo, s36
	s_and_b32 s22, s22, exec_lo
	s_or_saveexec_b32 s23, s23
	v_mov_b32_e32 v3, 0x7f800001
	s_xor_b32 exec_lo, exec_lo, s23
	s_cbranch_execnz .LBB18_197
.LBB18_180:
	s_or_b32 exec_lo, exec_lo, s23
	s_and_saveexec_b32 s23, s22
	s_cbranch_execz .LBB18_182
.LBB18_181:
	v_and_b32_e32 v3, 0xffff, v4
	v_lshlrev_b32_e32 v4, 24, v4
	v_and_b32_e32 v5, 7, v3
	v_bfe_u32 v9, v3, 3, 4
	v_and_b32_e32 v4, 0x80000000, v4
	v_ffbh_u32_e32 v6, v5
	v_cmp_eq_u32_e32 vcc_lo, 0, v9
	v_min_u32_e32 v6, 32, v6
	v_subrev_nc_u32_e32 v7, 28, v6
	v_sub_nc_u32_e32 v6, 29, v6
	v_lshlrev_b32_e32 v3, v7, v3
	v_cndmask_b32_e32 v6, v9, v6, vcc_lo
	v_and_b32_e32 v3, 7, v3
	v_cndmask_b32_e32 v3, v5, v3, vcc_lo
	v_lshl_add_u32 v5, v6, 23, 0x3b800000
	v_lshlrev_b32_e32 v3, 20, v3
	v_or3_b32 v3, v4, v5, v3
.LBB18_182:
	s_or_b32 exec_lo, exec_lo, s23
.LBB18_183:
	s_mov_b32 s22, -1
.LBB18_184:
	s_branch .LBB18_219
.LBB18_185:
	s_cmp_gt_i32 s0, 22
	s_cbranch_scc0 .LBB18_195
; %bb.186:
	s_cmp_lt_i32 s0, 24
	s_cbranch_scc1 .LBB18_198
; %bb.187:
	s_cmp_gt_i32 s0, 24
	s_cbranch_scc0 .LBB18_199
; %bb.188:
	global_load_ubyte v4, v[1:2], off
	s_mov_b32 s22, 0
	s_mov_b32 s23, exec_lo
	s_waitcnt vmcnt(0)
	v_cmpx_lt_i16_e32 0x7f, v4
	s_xor_b32 s23, exec_lo, s23
	s_cbranch_execz .LBB18_211
; %bb.189:
	s_mov_b32 s22, -1
	s_mov_b32 s36, exec_lo
	v_cmpx_eq_u16_e32 0x80, v4
; %bb.190:
	s_xor_b32 s22, exec_lo, -1
; %bb.191:
	s_or_b32 exec_lo, exec_lo, s36
	s_and_b32 s22, s22, exec_lo
	s_or_saveexec_b32 s23, s23
	v_mov_b32_e32 v3, 0x7f800001
	s_xor_b32 exec_lo, exec_lo, s23
	s_cbranch_execnz .LBB18_212
.LBB18_192:
	s_or_b32 exec_lo, exec_lo, s23
	s_and_saveexec_b32 s23, s22
	s_cbranch_execz .LBB18_194
.LBB18_193:
	v_and_b32_e32 v3, 0xffff, v4
	v_lshlrev_b32_e32 v4, 24, v4
	v_and_b32_e32 v5, 3, v3
	v_bfe_u32 v9, v3, 2, 5
	v_and_b32_e32 v4, 0x80000000, v4
	v_ffbh_u32_e32 v6, v5
	v_cmp_eq_u32_e32 vcc_lo, 0, v9
	v_min_u32_e32 v6, 32, v6
	v_subrev_nc_u32_e32 v7, 29, v6
	v_sub_nc_u32_e32 v6, 30, v6
	v_lshlrev_b32_e32 v3, v7, v3
	v_cndmask_b32_e32 v6, v9, v6, vcc_lo
	v_and_b32_e32 v3, 3, v3
	v_cndmask_b32_e32 v3, v5, v3, vcc_lo
	v_lshl_add_u32 v5, v6, 23, 0x37800000
	v_lshlrev_b32_e32 v3, 21, v3
	v_or3_b32 v3, v4, v5, v3
.LBB18_194:
	s_or_b32 exec_lo, exec_lo, s23
	s_mov_b32 s22, 0
	s_branch .LBB18_200
.LBB18_195:
	s_mov_b32 s23, -1
                                        ; implicit-def: $vgpr3
	s_branch .LBB18_206
.LBB18_196:
	s_or_saveexec_b32 s23, s23
	v_mov_b32_e32 v3, 0x7f800001
	s_xor_b32 exec_lo, exec_lo, s23
	s_cbranch_execz .LBB18_180
.LBB18_197:
	v_cmp_ne_u16_e32 vcc_lo, 0, v4
	v_mov_b32_e32 v3, 0
	s_andn2_b32 s22, s22, exec_lo
	s_and_b32 s36, vcc_lo, exec_lo
	s_or_b32 s22, s22, s36
	s_or_b32 exec_lo, exec_lo, s23
	s_and_saveexec_b32 s23, s22
	s_cbranch_execnz .LBB18_181
	s_branch .LBB18_182
.LBB18_198:
	s_mov_b32 s22, -1
                                        ; implicit-def: $vgpr3
	s_branch .LBB18_203
.LBB18_199:
	s_mov_b32 s22, -1
                                        ; implicit-def: $vgpr3
.LBB18_200:
	s_and_b32 vcc_lo, exec_lo, s22
	s_cbranch_vccz .LBB18_202
; %bb.201:
	global_load_ubyte v3, v[1:2], off
	s_waitcnt vmcnt(0)
	v_lshlrev_b32_e32 v3, 24, v3
	v_and_b32_e32 v4, 0x7f000000, v3
	v_ffbh_u32_e32 v5, v4
	v_add_nc_u32_e32 v7, 0x1000000, v4
	v_cmp_ne_u32_e32 vcc_lo, 0, v4
	v_min_u32_e32 v5, 32, v5
	v_sub_nc_u32_e64 v5, v5, 4 clamp
	v_lshlrev_b32_e32 v6, v5, v4
	v_lshlrev_b32_e32 v5, 23, v5
	v_lshrrev_b32_e32 v6, 4, v6
	v_sub_nc_u32_e32 v5, v6, v5
	v_ashrrev_i32_e32 v6, 8, v7
	v_add_nc_u32_e32 v5, 0x3c000000, v5
	v_and_or_b32 v5, 0x7f800000, v6, v5
	v_cndmask_b32_e32 v4, 0, v5, vcc_lo
	v_and_or_b32 v3, 0x80000000, v3, v4
.LBB18_202:
	s_mov_b32 s22, 0
.LBB18_203:
	s_andn2_b32 vcc_lo, exec_lo, s22
	s_cbranch_vccnz .LBB18_205
; %bb.204:
	global_load_ubyte v3, v[1:2], off
	s_waitcnt vmcnt(0)
	v_lshlrev_b32_e32 v4, 25, v3
	v_lshlrev_b16 v3, 8, v3
	v_lshrrev_b32_e32 v5, 4, v4
	v_and_or_b32 v6, 0x7f00, v3, 0.5
	v_cmp_gt_u32_e32 vcc_lo, 0x8000000, v4
	v_bfe_i32 v3, v3, 0, 16
	v_or_b32_e32 v5, 0x70000000, v5
	v_add_f32_e32 v6, -0.5, v6
	v_mul_f32_e32 v5, 0x7800000, v5
	v_cndmask_b32_e32 v4, v5, v6, vcc_lo
	v_and_or_b32 v3, 0x80000000, v3, v4
.LBB18_205:
	s_mov_b32 s23, 0
	s_mov_b32 s22, -1
.LBB18_206:
	s_andn2_b32 vcc_lo, exec_lo, s23
	s_cbranch_vccnz .LBB18_219
; %bb.207:
	s_cmp_gt_i32 s0, 14
	s_cbranch_scc0 .LBB18_210
; %bb.208:
	s_cmp_eq_u32 s0, 15
	s_cbranch_scc0 .LBB18_213
; %bb.209:
	global_load_ushort v3, v[1:2], off
	s_mov_b32 s22, -1
	s_mov_b32 s1, 0
	s_waitcnt vmcnt(0)
	v_lshlrev_b32_e32 v3, 16, v3
	s_branch .LBB18_214
.LBB18_210:
	s_mov_b32 s23, -1
                                        ; implicit-def: $vgpr3
	s_branch .LBB18_215
.LBB18_211:
	s_or_saveexec_b32 s23, s23
	v_mov_b32_e32 v3, 0x7f800001
	s_xor_b32 exec_lo, exec_lo, s23
	s_cbranch_execz .LBB18_192
.LBB18_212:
	v_cmp_ne_u16_e32 vcc_lo, 0, v4
	v_mov_b32_e32 v3, 0
	s_andn2_b32 s22, s22, exec_lo
	s_and_b32 s36, vcc_lo, exec_lo
	s_or_b32 s22, s22, s36
	s_or_b32 exec_lo, exec_lo, s23
	s_and_saveexec_b32 s23, s22
	s_cbranch_execnz .LBB18_193
	s_branch .LBB18_194
.LBB18_213:
	s_mov_b32 s1, -1
                                        ; implicit-def: $vgpr3
.LBB18_214:
	s_mov_b32 s23, 0
.LBB18_215:
	s_and_b32 vcc_lo, exec_lo, s23
	s_cbranch_vccz .LBB18_219
; %bb.216:
	s_cmp_eq_u32 s0, 11
	s_cbranch_scc0 .LBB18_218
; %bb.217:
	global_load_ubyte v3, v[1:2], off
	s_mov_b32 s1, 0
	s_mov_b32 s22, -1
	s_waitcnt vmcnt(0)
	v_cmp_ne_u16_e32 vcc_lo, 0, v3
	v_cndmask_b32_e64 v3, 0, 1.0, vcc_lo
	s_branch .LBB18_219
.LBB18_218:
	s_mov_b32 s1, -1
                                        ; implicit-def: $vgpr3
.LBB18_219:
	s_branch .LBB18_24
.LBB18_220:
	s_cmp_lt_i32 s0, 5
	s_cbranch_scc1 .LBB18_225
; %bb.221:
	s_cmp_lt_i32 s0, 8
	s_cbranch_scc1 .LBB18_226
; %bb.222:
	;; [unrolled: 3-line block ×3, first 2 shown]
	s_cmp_gt_i32 s0, 9
	s_cbranch_scc0 .LBB18_228
; %bb.224:
	global_load_dwordx2 v[3:4], v[1:2], off
	s_mov_b32 s22, 0
	s_waitcnt vmcnt(0)
	v_cvt_f32_f64_e32 v3, v[3:4]
	s_branch .LBB18_229
.LBB18_225:
                                        ; implicit-def: $vgpr3
	s_branch .LBB18_247
.LBB18_226:
	s_mov_b32 s22, -1
                                        ; implicit-def: $vgpr3
	s_branch .LBB18_235
.LBB18_227:
	s_mov_b32 s22, -1
                                        ; implicit-def: $vgpr3
	s_branch .LBB18_232
.LBB18_228:
	s_mov_b32 s22, -1
                                        ; implicit-def: $vgpr3
.LBB18_229:
	s_andn2_b32 vcc_lo, exec_lo, s22
	s_cbranch_vccnz .LBB18_231
; %bb.230:
	global_load_dword v3, v[1:2], off
.LBB18_231:
	s_mov_b32 s22, 0
.LBB18_232:
	s_andn2_b32 vcc_lo, exec_lo, s22
	s_cbranch_vccnz .LBB18_234
; %bb.233:
	global_load_dword v3, v[1:2], off
	s_waitcnt vmcnt(0)
	v_cvt_f32_f16_e32 v3, v3
.LBB18_234:
	s_mov_b32 s22, 0
.LBB18_235:
	s_andn2_b32 vcc_lo, exec_lo, s22
	s_cbranch_vccnz .LBB18_246
; %bb.236:
	s_cmp_lt_i32 s0, 6
	s_cbranch_scc1 .LBB18_239
; %bb.237:
	s_cmp_gt_i32 s0, 6
	s_cbranch_scc0 .LBB18_240
; %bb.238:
	global_load_dwordx2 v[3:4], v[1:2], off
	s_mov_b32 s22, 0
	s_waitcnt vmcnt(0)
	v_cvt_f32_f64_e32 v3, v[3:4]
	s_branch .LBB18_241
.LBB18_239:
	s_mov_b32 s22, -1
                                        ; implicit-def: $vgpr3
	s_branch .LBB18_244
.LBB18_240:
	s_mov_b32 s22, -1
                                        ; implicit-def: $vgpr3
.LBB18_241:
	s_andn2_b32 vcc_lo, exec_lo, s22
	s_cbranch_vccnz .LBB18_243
; %bb.242:
	global_load_dword v3, v[1:2], off
.LBB18_243:
	s_mov_b32 s22, 0
.LBB18_244:
	s_andn2_b32 vcc_lo, exec_lo, s22
	s_cbranch_vccnz .LBB18_246
; %bb.245:
	global_load_ushort v3, v[1:2], off
	s_waitcnt vmcnt(0)
	v_cvt_f32_f16_e32 v3, v3
.LBB18_246:
	s_cbranch_execnz .LBB18_266
.LBB18_247:
	s_cmp_lt_i32 s0, 2
	s_cbranch_scc1 .LBB18_251
; %bb.248:
	s_cmp_lt_i32 s0, 3
	s_cbranch_scc1 .LBB18_252
; %bb.249:
	s_cmp_gt_i32 s0, 3
	s_cbranch_scc0 .LBB18_253
; %bb.250:
	global_load_dwordx2 v[3:4], v[1:2], off
	s_mov_b32 s22, 0
	s_waitcnt vmcnt(0)
	v_xor_b32_e32 v5, v3, v4
	v_ffbh_i32_e32 v6, v4
	v_ashrrev_i32_e32 v5, 31, v5
	v_add_nc_u32_e32 v6, -1, v6
	v_add_nc_u32_e32 v5, 32, v5
	v_min_u32_e32 v5, v6, v5
	v_lshlrev_b64 v[3:4], v5, v[3:4]
	v_min_u32_e32 v3, 1, v3
	v_or_b32_e32 v3, v4, v3
	v_sub_nc_u32_e32 v4, 32, v5
	v_cvt_f32_i32_e32 v3, v3
	v_ldexp_f32 v3, v3, v4
	s_branch .LBB18_254
.LBB18_251:
	s_mov_b32 s22, -1
                                        ; implicit-def: $vgpr3
	s_branch .LBB18_260
.LBB18_252:
	s_mov_b32 s22, -1
                                        ; implicit-def: $vgpr3
	s_branch .LBB18_257
.LBB18_253:
	s_mov_b32 s22, -1
                                        ; implicit-def: $vgpr3
.LBB18_254:
	s_andn2_b32 vcc_lo, exec_lo, s22
	s_cbranch_vccnz .LBB18_256
; %bb.255:
	global_load_dword v3, v[1:2], off
	s_waitcnt vmcnt(0)
	v_cvt_f32_i32_e32 v3, v3
.LBB18_256:
	s_mov_b32 s22, 0
.LBB18_257:
	s_andn2_b32 vcc_lo, exec_lo, s22
	s_cbranch_vccnz .LBB18_259
; %bb.258:
	global_load_sshort v3, v[1:2], off
	s_waitcnt vmcnt(0)
	v_cvt_f32_i32_e32 v3, v3
.LBB18_259:
	s_mov_b32 s22, 0
.LBB18_260:
	s_andn2_b32 vcc_lo, exec_lo, s22
	s_cbranch_vccnz .LBB18_266
; %bb.261:
	s_cmp_gt_i32 s0, 0
	s_mov_b32 s0, 0
	s_cbranch_scc0 .LBB18_263
; %bb.262:
	global_load_sbyte v3, v[1:2], off
	s_waitcnt vmcnt(0)
	v_cvt_f32_i32_e32 v3, v3
	s_branch .LBB18_264
.LBB18_263:
	s_mov_b32 s0, -1
                                        ; implicit-def: $vgpr3
.LBB18_264:
	s_andn2_b32 vcc_lo, exec_lo, s0
	s_cbranch_vccnz .LBB18_266
; %bb.265:
	global_load_ubyte v1, v[1:2], off
	s_waitcnt vmcnt(0)
	v_cvt_f32_ubyte0_e32 v3, v1
.LBB18_266:
	s_branch .LBB18_25
.LBB18_267:
	s_mov_b32 s0, 0
.LBB18_268:
	s_mov_b32 s22, 0
                                        ; implicit-def: $vgpr8
.LBB18_269:
	s_and_b32 s36, s0, exec_lo
	s_and_b32 s37, s1, exec_lo
	s_orn2_b32 s1, s22, exec_lo
.LBB18_270:
	s_or_b32 exec_lo, exec_lo, s38
	s_mov_b32 s22, 0
	s_mov_b32 s0, 0
                                        ; implicit-def: $vgpr1_vgpr2
                                        ; implicit-def: $vgpr0
                                        ; implicit-def: $vgpr5
	s_and_saveexec_b32 s38, s1
	s_cbranch_execz .LBB18_277
; %bb.271:
	s_mov_b32 s0, -1
	s_mov_b32 s39, s37
	s_mov_b32 s40, s36
	s_mov_b32 s41, exec_lo
	v_cmpx_gt_i32_e64 s33, v8
	s_cbranch_execz .LBB18_551
; %bb.272:
	s_andn2_b32 vcc_lo, exec_lo, s27
	s_cbranch_vccnz .LBB18_280
; %bb.273:
	s_andn2_b32 vcc_lo, exec_lo, s34
	s_cbranch_vccnz .LBB18_281
; %bb.274:
	s_add_i32 s40, s35, 1
	s_cmp_eq_u32 s25, 2
	s_cbranch_scc1 .LBB18_282
; %bb.275:
	v_mov_b32_e32 v2, 0
	v_mov_b32_e32 v0, 0
	;; [unrolled: 1-line block ×3, first 2 shown]
	s_and_b32 s39, s40, 28
	s_mov_b32 s42, 0
	s_mov_b64 s[0:1], s[2:3]
	s_mov_b64 s[22:23], s[20:21]
.LBB18_276:                             ; =>This Inner Loop Header: Depth=1
	s_clause 0x1
	s_load_dwordx8 s[44:51], s[0:1], 0x4
	s_load_dwordx4 s[60:63], s[0:1], 0x24
	s_load_dwordx8 s[52:59], s[22:23], 0x0
	s_add_u32 s0, s0, 48
	s_addc_u32 s1, s1, 0
	s_add_i32 s42, s42, 4
	s_add_u32 s22, s22, 32
	s_addc_u32 s23, s23, 0
	s_cmp_eq_u32 s39, s42
	s_waitcnt vmcnt(0) lgkmcnt(0)
	v_mul_hi_u32 v3, s45, v1
	v_add_nc_u32_e32 v3, v1, v3
	v_lshrrev_b32_e32 v3, s46, v3
	v_mul_hi_u32 v4, s48, v3
	v_mul_lo_u32 v6, v3, s44
	v_add_nc_u32_e32 v4, v3, v4
	v_sub_nc_u32_e32 v1, v1, v6
	v_lshrrev_b32_e32 v4, s49, v4
	v_mul_lo_u32 v6, v1, s52
	v_mul_lo_u32 v9, v1, s53
	v_mul_hi_u32 v5, s51, v4
	v_add_nc_u32_e32 v5, v4, v5
	v_lshrrev_b32_e32 v5, s60, v5
	v_mul_hi_u32 v7, s62, v5
	v_mul_lo_u32 v10, v5, s50
	v_add_nc_u32_e32 v1, v5, v7
	v_mul_lo_u32 v7, v4, s47
	v_sub_nc_u32_e32 v4, v4, v10
	v_lshrrev_b32_e32 v1, s63, v1
	v_mul_lo_u32 v10, v4, s56
	v_mul_lo_u32 v4, v4, s57
	v_sub_nc_u32_e32 v3, v3, v7
	v_mul_lo_u32 v11, v1, s61
	v_mul_lo_u32 v7, v3, s54
	;; [unrolled: 1-line block ×3, first 2 shown]
	v_sub_nc_u32_e32 v5, v5, v11
	v_add3_u32 v0, v6, v0, v7
	v_mul_lo_u32 v11, v5, s58
	v_mul_lo_u32 v5, v5, s59
	v_add3_u32 v2, v9, v2, v3
	v_add3_u32 v0, v10, v0, v11
	;; [unrolled: 1-line block ×3, first 2 shown]
	s_cbranch_scc0 .LBB18_276
	s_branch .LBB18_283
.LBB18_277:
	s_or_b32 exec_lo, exec_lo, s38
	s_mov_b32 s1, 0
	s_waitcnt lgkmcnt(0)
	s_and_saveexec_b32 s6, s37
	s_cbranch_execnz .LBB18_933
.LBB18_278:
	s_or_b32 exec_lo, exec_lo, s6
	s_and_saveexec_b32 s6, s39
	s_xor_b32 s6, exec_lo, s6
	s_cbranch_execz .LBB18_934
.LBB18_279:
	global_load_ubyte v3, v[1:2], off
	s_or_b32 s0, s0, exec_lo
	s_waitcnt vmcnt(0)
	v_cmp_ne_u16_e32 vcc_lo, 0, v3
	v_cndmask_b32_e64 v5, 0, 1.0, vcc_lo
	s_or_b32 exec_lo, exec_lo, s6
	s_and_saveexec_b32 s6, s22
	s_cbranch_execz .LBB18_980
	s_branch .LBB18_935
.LBB18_280:
                                        ; implicit-def: $vgpr0
                                        ; implicit-def: $vgpr2
	s_andn2_b32 vcc_lo, exec_lo, s0
	s_cbranch_vccz .LBB18_287
	s_branch .LBB18_289
.LBB18_281:
	v_mov_b32_e32 v0, 0
	v_mov_b32_e32 v2, 0
	s_branch .LBB18_286
.LBB18_282:
	v_mov_b32_e32 v0, 0
	v_mov_b32_e32 v2, 0
	;; [unrolled: 1-line block ×3, first 2 shown]
	s_mov_b32 s39, 0
.LBB18_283:
	s_and_b32 s40, s40, 3
	s_cmp_eq_u32 s40, 0
	s_cbranch_scc1 .LBB18_286
; %bb.284:
	s_lshl_b32 s0, s39, 3
	s_mul_i32 s22, s39, 12
	s_add_u32 s0, s2, s0
	s_addc_u32 s1, s3, 0
	s_add_u32 s0, s0, 0xc4
	s_addc_u32 s1, s1, 0
	;; [unrolled: 2-line block ×3, first 2 shown]
	.p2align	6
.LBB18_285:                             ; =>This Inner Loop Header: Depth=1
	s_clause 0x1
	s_load_dwordx2 s[42:43], s[22:23], 0x4
	s_load_dword s39, s[22:23], 0xc
	s_load_dwordx2 s[44:45], s[0:1], 0x0
	s_add_u32 s22, s22, 12
	s_addc_u32 s23, s23, 0
	s_add_u32 s0, s0, 8
	s_addc_u32 s1, s1, 0
	s_add_i32 s40, s40, -1
	s_cmp_lg_u32 s40, 0
	s_waitcnt vmcnt(0) lgkmcnt(0)
	v_mul_hi_u32 v3, s43, v1
	v_add_nc_u32_e32 v3, v1, v3
	v_lshrrev_b32_e32 v4, s39, v3
	v_mul_lo_u32 v3, v4, s42
	v_sub_nc_u32_e32 v3, v1, v3
	v_mad_u64_u32 v[0:1], null, v3, s44, v[0:1]
	v_mad_u64_u32 v[2:3], null, v3, s45, v[2:3]
	v_mov_b32_e32 v1, v4
	s_cbranch_scc1 .LBB18_285
.LBB18_286:
	s_cbranch_execnz .LBB18_289
.LBB18_287:
	s_waitcnt lgkmcnt(0)
	v_mul_hi_u32 v0, s17, v8
	s_andn2_b32 vcc_lo, exec_lo, s31
	v_add_nc_u32_e32 v0, v8, v0
	v_lshrrev_b32_e32 v1, s18, v0
	v_mul_lo_u32 v0, v1, s16
	v_sub_nc_u32_e32 v2, v8, v0
	v_mul_lo_u32 v0, v2, s12
	v_mul_lo_u32 v2, v2, s13
	s_cbranch_vccnz .LBB18_289
; %bb.288:
	s_waitcnt vmcnt(0)
	v_mul_hi_u32 v3, s6, v1
	v_add_nc_u32_e32 v3, v1, v3
	v_lshrrev_b32_e32 v3, s7, v3
	v_mul_lo_u32 v3, v3, s19
	v_sub_nc_u32_e32 v3, v1, v3
	v_mad_u64_u32 v[0:1], null, v3, s14, v[0:1]
	v_mad_u64_u32 v[2:3], null, v3, s15, v[2:3]
.LBB18_289:
	s_waitcnt lgkmcnt(0)
	v_add_co_u32 v1, s0, s10, v2
	v_add_co_ci_u32_e64 v2, null, s11, 0, s0
	s_and_b32 s0, 0xffff, s30
	s_cmp_lt_i32 s0, 11
	s_cbranch_scc1 .LBB18_296
; %bb.290:
	s_cmp_gt_i32 s0, 25
	s_cbranch_scc0 .LBB18_309
; %bb.291:
	s_cmp_gt_i32 s0, 28
	s_cbranch_scc0 .LBB18_311
	;; [unrolled: 3-line block ×4, first 2 shown]
; %bb.294:
	s_cmp_eq_u32 s0, 46
	s_mov_b32 s23, 0
	s_cbranch_scc0 .LBB18_321
; %bb.295:
	global_load_dword v3, v[1:2], off
	s_mov_b32 s22, -1
	s_mov_b32 s1, 0
	s_waitcnt vmcnt(0)
	v_lshlrev_b32_e32 v3, 16, v3
	s_branch .LBB18_323
.LBB18_296:
	s_mov_b32 s22, 0
	s_mov_b32 s1, s37
                                        ; implicit-def: $vgpr3
	s_cbranch_execnz .LBB18_500
.LBB18_297:
	s_andn2_b32 vcc_lo, exec_lo, s22
	s_cbranch_vccnz .LBB18_548
.LBB18_298:
	s_waitcnt vmcnt(0)
	v_cmp_ge_f32_e64 s0, 0x41000000, |v3|
                                        ; implicit-def: $vgpr1
	s_and_saveexec_b32 s22, s0
	s_xor_b32 s0, exec_lo, s22
	s_cbranch_execz .LBB18_300
; %bb.299:
	v_fma_f32 v1, |v3|, 0.5, -2.0
	s_mov_b32 s22, 0xa2a2e5b9
	v_mul_f32_e64 v5, 0x3fb8aa3b, |v3|
	v_cmp_ngt_f32_e64 vcc_lo, 0xc2ce8ed0, |v3|
	v_fmaak_f32 v2, s22, v1, 0x24199b15
	v_rndne_f32_e32 v6, v5
	v_fma_f32 v7, 0x3fb8aa3b, |v3|, -v5
	v_fmaak_f32 v4, v1, v2, 0x22a2e5b9
	v_sub_f32_e32 v5, v5, v6
	v_fma_f32 v7, 0x32a5705f, |v3|, v7
	v_cvt_i32_f32_e32 v6, v6
	v_add_f32_e32 v4, 0xa58c275c, v4
	v_add_f32_e32 v5, v5, v7
	v_fma_f32 v2, v1, v4, -v2
	v_exp_f32_e32 v5, v5
	v_add_f32_e32 v2, 0x26f736c5, v2
	v_fma_f32 v4, v1, v2, -v4
	v_add_f32_e32 v4, 0xa8528116, v4
	v_fma_f32 v2, v1, v4, -v2
	;; [unrolled: 2-line block ×26, first 2 shown]
	v_ldexp_f32 v4, v5, v6
	v_add_f32_e32 v1, 0x3f2d4275, v1
	v_cndmask_b32_e32 v4, 0, v4, vcc_lo
	v_cmp_nlt_f32_e64 vcc_lo, 0x42b17218, |v3|
                                        ; implicit-def: $vgpr3
	v_sub_f32_e32 v1, v1, v2
	v_cndmask_b32_e32 v2, 0x7f800000, v4, vcc_lo
	v_mul_f32_e32 v1, 0.5, v1
	v_mul_f32_e32 v1, v2, v1
.LBB18_300:
	s_andn2_saveexec_b32 s22, s0
	s_cbranch_execz .LBB18_302
; %bb.301:
	v_and_b32_e32 v1, 0x7fffffff, v3
	s_mov_b32 s0, 0xa3056dbb
	v_div_scale_f32 v2, null, v1, v1, 0x42000000
	v_div_scale_f32 v1, vcc_lo, 0x42000000, v1, 0x42000000
	v_rcp_f32_e32 v4, v2
	v_fma_f32 v5, -v2, v4, 1.0
	v_fmac_f32_e32 v4, v5, v4
	v_mul_f32_e32 v5, v1, v4
	v_fma_f32 v6, -v2, v5, v1
	v_fmac_f32_e32 v5, v6, v4
	v_mul_f32_e64 v6, 0x3fb8aa3b, |v3|
	v_fma_f32 v1, -v2, v5, v1
	v_rndne_f32_e32 v7, v6
	v_fma_f32 v9, 0x3fb8aa3b, |v3|, -v6
	v_div_fmas_f32 v1, v1, v4, v5
	v_mul_f32_e64 v5, 0x4f800000, |v3|
	v_cmp_gt_f32_e64 vcc_lo, 0xf800000, |v3|
	v_sub_f32_e32 v6, v6, v7
	v_fma_f32 v9, 0x32a5705f, |v3|, v9
	v_div_fixup_f32 v1, v1, |v3|, 0x42000000
	v_cvt_i32_f32_e32 v7, v7
	v_cndmask_b32_e64 v5, |v3|, v5, vcc_lo
	v_add_f32_e32 v6, v6, v9
	v_add_f32_e32 v1, -2.0, v1
	v_sqrt_f32_e32 v10, v5
	v_exp_f32_e32 v6, v6
	v_fmaak_f32 v2, s0, v1, 0xa2b236d3
	v_fmaak_f32 v4, v1, v2, 0x23056dbb
	v_add_nc_u32_e32 v9, -1, v10
	v_add_nc_u32_e32 v11, 1, v10
	v_add_f32_e32 v4, 0x244df0c1, v4
	v_fma_f32 v12, -v9, v10, v5
	v_fma_f32 v13, -v11, v10, v5
	v_fma_f32 v2, v1, v4, -v2
	v_cmp_ge_f32_e64 s0, 0, v12
	v_add_f32_e32 v2, 0x241f9ee8, v2
	v_cndmask_b32_e64 v9, v10, v9, s0
	v_cmp_lt_f32_e64 s0, 0, v13
	v_fma_f32 v4, v1, v2, -v4
	v_add_f32_e32 v4, 0xa5a3005d, v4
	v_fma_f32 v2, v1, v4, -v2
	v_add_f32_e32 v2, 0xa5c5773f, v2
	;; [unrolled: 2-line block ×20, first 2 shown]
	v_fma_f32 v1, v1, v2, -v4
	v_ldexp_f32 v2, v6, v7
	v_cndmask_b32_e64 v6, v9, v11, s0
	v_cmp_ngt_f32_e64 s0, 0xc2ce8ed0, |v3|
	v_add_f32_e32 v1, 0x3f4df315, v1
	v_mul_f32_e32 v7, 0x37800000, v6
	v_cndmask_b32_e64 v2, 0, v2, s0
	v_cmp_nlt_f32_e64 s0, 0x42b17218, |v3|
	v_sub_f32_e32 v1, v1, v4
	v_cndmask_b32_e32 v3, v6, v7, vcc_lo
	v_cmp_class_f32_e64 vcc_lo, v5, 0x260
	v_cndmask_b32_e64 v2, 0x7f800000, v2, s0
	v_mul_f32_e32 v1, 0.5, v1
	v_cndmask_b32_e32 v3, v3, v5, vcc_lo
	v_mul_f32_e32 v1, v2, v1
	v_div_scale_f32 v2, null, v3, v3, v1
	v_rcp_f32_e32 v4, v2
	v_fma_f32 v5, -v2, v4, 1.0
	v_fmac_f32_e32 v4, v5, v4
	v_div_scale_f32 v5, vcc_lo, v1, v3, v1
	v_mul_f32_e32 v6, v5, v4
	v_fma_f32 v7, -v2, v6, v5
	v_fmac_f32_e32 v6, v7, v4
	v_fma_f32 v2, -v2, v6, v5
	v_div_fmas_f32 v2, v2, v4, v6
	v_div_fixup_f32 v1, v2, v3, v1
.LBB18_302:
	s_or_b32 exec_lo, exec_lo, s22
	v_add_co_u32 v3, s0, s8, v0
	v_add_co_ci_u32_e64 v4, null, s9, 0, s0
	s_and_b32 s22, s29, 0xff
	s_cmp_lt_i32 s22, 11
	s_cbranch_scc1 .LBB18_310
; %bb.303:
	s_and_b32 s23, 0xffff, s22
	s_cmp_gt_i32 s23, 25
	s_cbranch_scc0 .LBB18_312
; %bb.304:
	s_cmp_gt_i32 s23, 28
	s_cbranch_scc0 .LBB18_314
; %bb.305:
	;; [unrolled: 3-line block ×4, first 2 shown]
	s_mov_b32 s40, 0
	s_mov_b32 s0, -1
	s_cmp_eq_u32 s23, 46
	s_mov_b32 s39, 0
	s_cbranch_scc0 .LBB18_327
; %bb.308:
	v_bfe_u32 v0, v1, 16, 1
	v_cmp_o_f32_e32 vcc_lo, v1, v1
	v_mov_b32_e32 v2, 0x7fc0
	s_mov_b32 s39, -1
	s_mov_b32 s0, 0
	v_add3_u32 v0, v1, v0, 0x7fff
	v_cndmask_b32_sdwa v0, v2, v0, vcc_lo dst_sel:DWORD dst_unused:UNUSED_PAD src0_sel:DWORD src1_sel:WORD_1
	global_store_dword v[3:4], v0, off
	s_branch .LBB18_327
.LBB18_309:
	s_mov_b32 s23, -1
	s_mov_b32 s22, 0
	s_mov_b32 s1, s37
                                        ; implicit-def: $vgpr3
	s_branch .LBB18_464
.LBB18_310:
	s_mov_b32 s23, -1
	s_mov_b32 s39, 0
	s_mov_b32 s0, s36
	s_branch .LBB18_396
.LBB18_311:
	s_mov_b32 s23, -1
	s_mov_b32 s22, 0
	s_mov_b32 s1, s37
                                        ; implicit-def: $vgpr3
	s_branch .LBB18_445
.LBB18_312:
	s_mov_b32 s40, -1
	s_mov_b32 s39, 0
	s_mov_b32 s0, s36
	s_branch .LBB18_354
.LBB18_313:
	s_mov_b32 s23, -1
	s_mov_b32 s22, 0
	s_mov_b32 s1, s37
                                        ; implicit-def: $vgpr3
	s_branch .LBB18_440
.LBB18_314:
	s_mov_b32 s40, -1
	s_mov_b32 s39, 0
	s_mov_b32 s0, s36
	s_branch .LBB18_337
.LBB18_315:
	s_andn2_saveexec_b32 s40, s40
	s_cbranch_execz .LBB18_72
.LBB18_316:
	v_add_f32_e64 v0, 0x46000000, |v1|
	s_andn2_b32 s37, s37, exec_lo
	v_and_b32_e32 v0, 0xff, v0
	v_cmp_ne_u32_e32 vcc_lo, 0, v0
	s_and_b32 s41, vcc_lo, exec_lo
	s_or_b32 s37, s37, s41
	s_or_b32 exec_lo, exec_lo, s40
	v_mov_b32_e32 v2, 0
	s_and_saveexec_b32 s40, s37
	s_cbranch_execnz .LBB18_73
	s_branch .LBB18_74
.LBB18_317:
	s_mov_b32 s23, -1
	s_mov_b32 s22, 0
	s_mov_b32 s1, s37
	s_branch .LBB18_322
.LBB18_318:
	s_mov_b32 s40, -1
	s_mov_b32 s39, 0
	s_mov_b32 s0, s36
	s_branch .LBB18_333
.LBB18_319:
	s_andn2_saveexec_b32 s40, s40
	s_cbranch_execz .LBB18_85
.LBB18_320:
	v_add_f32_e64 v0, 0x42800000, |v1|
	s_andn2_b32 s37, s37, exec_lo
	v_and_b32_e32 v0, 0xff, v0
	v_cmp_ne_u32_e32 vcc_lo, 0, v0
	s_and_b32 s41, vcc_lo, exec_lo
	s_or_b32 s37, s37, s41
	s_or_b32 exec_lo, exec_lo, s40
	v_mov_b32_e32 v2, 0
	s_and_saveexec_b32 s40, s37
	s_cbranch_execnz .LBB18_86
	s_branch .LBB18_87
.LBB18_321:
	s_mov_b32 s1, -1
	s_mov_b32 s22, 0
.LBB18_322:
                                        ; implicit-def: $vgpr3
.LBB18_323:
	s_and_b32 vcc_lo, exec_lo, s23
	s_cbranch_vccz .LBB18_439
; %bb.324:
	s_cmp_eq_u32 s0, 44
	s_cbranch_scc0 .LBB18_438
; %bb.325:
	global_load_ubyte v3, v[1:2], off
	s_mov_b32 s1, 0
	s_mov_b32 s22, -1
	s_waitcnt vmcnt(0)
	v_lshlrev_b32_e32 v4, 23, v3
	v_cmp_ne_u32_e32 vcc_lo, 0xff, v3
	v_cndmask_b32_e32 v4, 0x7f800001, v4, vcc_lo
	v_cmp_ne_u32_e32 vcc_lo, 0, v3
	v_cndmask_b32_e32 v3, 0x400000, v4, vcc_lo
	s_branch .LBB18_439
.LBB18_326:
	s_mov_b32 s40, -1
	s_mov_b32 s39, 0
	s_mov_b32 s0, s36
.LBB18_327:
	s_and_b32 vcc_lo, exec_lo, s40
	s_cbranch_vccz .LBB18_332
; %bb.328:
	s_cmp_eq_u32 s23, 44
	s_mov_b32 s0, -1
	s_cbranch_scc0 .LBB18_332
; %bb.329:
	v_bfe_u32 v2, v1, 23, 8
	v_mov_b32_e32 v0, 0xff
	s_mov_b32 s39, exec_lo
	v_cmpx_ne_u32_e32 0xff, v2
	s_cbranch_execz .LBB18_331
; %bb.330:
	v_and_b32_e32 v0, 0x400000, v1
	v_and_or_b32 v2, 0x3fffff, v1, v2
	v_cmp_ne_u32_e32 vcc_lo, 0, v0
	v_cmp_ne_u32_e64 s0, 0, v2
	v_lshrrev_b32_e32 v0, 23, v1
	s_and_b32 s0, vcc_lo, s0
	v_cndmask_b32_e64 v2, 0, 1, s0
	v_add_nc_u32_e32 v0, v0, v2
.LBB18_331:
	s_or_b32 exec_lo, exec_lo, s39
	s_mov_b32 s39, -1
	s_mov_b32 s0, 0
	global_store_byte v[3:4], v0, off
.LBB18_332:
	s_mov_b32 s40, 0
.LBB18_333:
	s_and_b32 vcc_lo, exec_lo, s40
	s_cbranch_vccz .LBB18_336
; %bb.334:
	s_cmp_eq_u32 s23, 29
	s_mov_b32 s0, -1
	s_cbranch_scc0 .LBB18_336
; %bb.335:
	v_trunc_f32_e32 v0, v1
	s_mov_b32 s39, -1
	s_mov_b32 s0, 0
	s_mov_b32 s40, 0
	v_mul_f32_e32 v2, 0x2f800000, v0
	v_floor_f32_e32 v2, v2
	v_fmamk_f32 v0, v2, 0xcf800000, v0
	v_cvt_u32_f32_e32 v6, v2
	v_cvt_u32_f32_e32 v5, v0
	global_store_dwordx2 v[3:4], v[5:6], off
	s_branch .LBB18_337
.LBB18_336:
	s_mov_b32 s40, 0
.LBB18_337:
	s_and_b32 vcc_lo, exec_lo, s40
	s_cbranch_vccz .LBB18_353
; %bb.338:
	s_cmp_lt_i32 s23, 27
	s_mov_b32 s39, -1
	s_cbranch_scc1 .LBB18_344
; %bb.339:
	v_cvt_u32_f32_e32 v0, v1
	s_cmp_gt_i32 s23, 27
	s_cbranch_scc0 .LBB18_341
; %bb.340:
	s_mov_b32 s39, 0
	global_store_dword v[3:4], v0, off
.LBB18_341:
	s_andn2_b32 vcc_lo, exec_lo, s39
	s_cbranch_vccnz .LBB18_343
; %bb.342:
	global_store_short v[3:4], v0, off
.LBB18_343:
	s_mov_b32 s39, 0
.LBB18_344:
	s_andn2_b32 vcc_lo, exec_lo, s39
	s_cbranch_vccnz .LBB18_352
; %bb.345:
	v_and_b32_e32 v0, 0x7fffffff, v1
	v_mov_b32_e32 v2, 0x80
	s_mov_b32 s39, exec_lo
	v_cmpx_gt_u32_e32 0x43800000, v0
	s_cbranch_execz .LBB18_351
; %bb.346:
	v_cmp_lt_u32_e32 vcc_lo, 0x3bffffff, v0
	s_mov_b32 s40, 0
                                        ; implicit-def: $vgpr0
	s_and_saveexec_b32 s42, vcc_lo
	s_xor_b32 s42, exec_lo, s42
	s_cbranch_execz .LBB18_579
; %bb.347:
	v_bfe_u32 v0, v1, 20, 1
	s_mov_b32 s40, exec_lo
	v_add3_u32 v0, v1, v0, 0x487ffff
	v_lshrrev_b32_e32 v0, 20, v0
	s_andn2_saveexec_b32 s42, s42
	s_cbranch_execnz .LBB18_580
.LBB18_348:
	s_or_b32 exec_lo, exec_lo, s42
	v_mov_b32_e32 v2, 0
	s_and_saveexec_b32 s42, s40
.LBB18_349:
	v_lshrrev_b32_e32 v2, 24, v1
	v_and_or_b32 v2, 0x80, v2, v0
.LBB18_350:
	s_or_b32 exec_lo, exec_lo, s42
.LBB18_351:
	s_or_b32 exec_lo, exec_lo, s39
	global_store_byte v[3:4], v2, off
.LBB18_352:
	s_mov_b32 s39, -1
.LBB18_353:
	s_mov_b32 s40, 0
.LBB18_354:
	s_and_b32 vcc_lo, exec_lo, s40
	s_cbranch_vccz .LBB18_395
; %bb.355:
	s_cmp_gt_i32 s23, 22
	s_mov_b32 s40, -1
	s_cbranch_scc0 .LBB18_387
; %bb.356:
	s_cmp_lt_i32 s23, 24
	s_mov_b32 s39, -1
	s_cbranch_scc1 .LBB18_376
; %bb.357:
	s_cmp_gt_i32 s23, 24
	s_cbranch_scc0 .LBB18_365
; %bb.358:
	v_and_b32_e32 v0, 0x7fffffff, v1
	v_mov_b32_e32 v2, 0x80
	s_mov_b32 s39, exec_lo
	v_cmpx_gt_u32_e32 0x47800000, v0
	s_cbranch_execz .LBB18_364
; %bb.359:
	v_cmp_lt_u32_e32 vcc_lo, 0x37ffffff, v0
	s_mov_b32 s40, 0
                                        ; implicit-def: $vgpr0
	s_and_saveexec_b32 s42, vcc_lo
	s_xor_b32 s42, exec_lo, s42
	s_cbranch_execz .LBB18_582
; %bb.360:
	v_bfe_u32 v0, v1, 21, 1
	s_mov_b32 s40, exec_lo
	v_add3_u32 v0, v1, v0, 0x88fffff
	v_lshrrev_b32_e32 v0, 21, v0
	s_andn2_saveexec_b32 s42, s42
	s_cbranch_execnz .LBB18_583
.LBB18_361:
	s_or_b32 exec_lo, exec_lo, s42
	v_mov_b32_e32 v2, 0
	s_and_saveexec_b32 s42, s40
.LBB18_362:
	v_lshrrev_b32_e32 v2, 24, v1
	v_and_or_b32 v2, 0x80, v2, v0
.LBB18_363:
	s_or_b32 exec_lo, exec_lo, s42
.LBB18_364:
	s_or_b32 exec_lo, exec_lo, s39
	s_mov_b32 s39, 0
	global_store_byte v[3:4], v2, off
.LBB18_365:
	s_and_b32 vcc_lo, exec_lo, s39
	s_cbranch_vccz .LBB18_375
; %bb.366:
	v_and_b32_e32 v2, 0x7fffffff, v1
	s_mov_b32 s39, exec_lo
                                        ; implicit-def: $vgpr0
	v_cmpx_gt_u32_e32 0x43f00000, v2
	s_xor_b32 s39, exec_lo, s39
	s_cbranch_execz .LBB18_372
; %bb.367:
	s_mov_b32 s40, exec_lo
                                        ; implicit-def: $vgpr0
	v_cmpx_lt_u32_e32 0x3c7fffff, v2
	s_xor_b32 s40, exec_lo, s40
; %bb.368:
	v_bfe_u32 v0, v1, 20, 1
	v_add3_u32 v0, v1, v0, 0x407ffff
	v_and_b32_e32 v2, 0xff00000, v0
	v_lshrrev_b32_e32 v0, 20, v0
	v_cmp_ne_u32_e32 vcc_lo, 0x7f00000, v2
	v_cndmask_b32_e32 v0, 0x7e, v0, vcc_lo
; %bb.369:
	s_andn2_saveexec_b32 s40, s40
; %bb.370:
	v_add_f32_e64 v0, 0x46800000, |v1|
; %bb.371:
	s_or_b32 exec_lo, exec_lo, s40
                                        ; implicit-def: $vgpr2
.LBB18_372:
	s_andn2_saveexec_b32 s39, s39
; %bb.373:
	v_mov_b32_e32 v0, 0x7f
	v_cmp_lt_u32_e32 vcc_lo, 0x7f800000, v2
	v_cndmask_b32_e32 v0, 0x7e, v0, vcc_lo
; %bb.374:
	s_or_b32 exec_lo, exec_lo, s39
	v_lshrrev_b32_e32 v2, 24, v1
	v_and_or_b32 v0, 0x80, v2, v0
	global_store_byte v[3:4], v0, off
.LBB18_375:
	s_mov_b32 s39, 0
.LBB18_376:
	s_andn2_b32 vcc_lo, exec_lo, s39
	s_cbranch_vccnz .LBB18_386
; %bb.377:
	v_and_b32_e32 v2, 0x7fffffff, v1
	s_mov_b32 s39, exec_lo
                                        ; implicit-def: $vgpr0
	v_cmpx_gt_u32_e32 0x47800000, v2
	s_xor_b32 s39, exec_lo, s39
	s_cbranch_execz .LBB18_383
; %bb.378:
	s_mov_b32 s40, exec_lo
                                        ; implicit-def: $vgpr0
	v_cmpx_lt_u32_e32 0x387fffff, v2
	s_xor_b32 s40, exec_lo, s40
; %bb.379:
	v_bfe_u32 v0, v1, 21, 1
	v_add3_u32 v0, v1, v0, 0x80fffff
	v_lshrrev_b32_e32 v0, 21, v0
; %bb.380:
	s_andn2_saveexec_b32 s40, s40
; %bb.381:
	v_add_f32_e64 v0, 0x43000000, |v1|
; %bb.382:
	s_or_b32 exec_lo, exec_lo, s40
                                        ; implicit-def: $vgpr2
.LBB18_383:
	s_andn2_saveexec_b32 s39, s39
; %bb.384:
	v_mov_b32_e32 v0, 0x7f
	v_cmp_lt_u32_e32 vcc_lo, 0x7f800000, v2
	v_cndmask_b32_e32 v0, 0x7c, v0, vcc_lo
; %bb.385:
	s_or_b32 exec_lo, exec_lo, s39
	v_lshrrev_b32_e32 v2, 24, v1
	v_and_or_b32 v0, 0x80, v2, v0
	global_store_byte v[3:4], v0, off
.LBB18_386:
	s_mov_b32 s40, 0
	s_mov_b32 s39, -1
.LBB18_387:
	s_andn2_b32 vcc_lo, exec_lo, s40
	s_cbranch_vccnz .LBB18_395
; %bb.388:
	s_cmp_gt_i32 s23, 14
	s_mov_b32 s40, -1
	s_cbranch_scc0 .LBB18_392
; %bb.389:
	s_cmp_eq_u32 s23, 15
	s_mov_b32 s0, -1
	s_cbranch_scc0 .LBB18_391
; %bb.390:
	v_bfe_u32 v0, v1, 16, 1
	v_cmp_o_f32_e32 vcc_lo, v1, v1
	v_mov_b32_e32 v2, 0x7fc0
	s_mov_b32 s39, -1
	s_mov_b32 s0, 0
	v_add3_u32 v0, v1, v0, 0x7fff
	v_cndmask_b32_sdwa v0, v2, v0, vcc_lo dst_sel:DWORD dst_unused:UNUSED_PAD src0_sel:DWORD src1_sel:WORD_1
	global_store_short v[3:4], v0, off
.LBB18_391:
	s_mov_b32 s40, 0
.LBB18_392:
	s_and_b32 vcc_lo, exec_lo, s40
	s_cbranch_vccz .LBB18_395
; %bb.393:
	s_cmp_eq_u32 s23, 11
	s_mov_b32 s0, -1
	s_cbranch_scc0 .LBB18_395
; %bb.394:
	v_cmp_neq_f32_e32 vcc_lo, 0, v1
	s_mov_b32 s0, 0
	s_mov_b32 s39, -1
	v_cndmask_b32_e64 v0, 0, 1, vcc_lo
	global_store_byte v[3:4], v0, off
.LBB18_395:
	s_mov_b32 s23, 0
.LBB18_396:
	s_and_b32 vcc_lo, exec_lo, s23
	s_cbranch_vccz .LBB18_435
; %bb.397:
	s_and_b32 s22, 0xffff, s22
	s_mov_b32 s23, -1
	s_cmp_lt_i32 s22, 5
	s_cbranch_scc1 .LBB18_418
; %bb.398:
	s_cmp_lt_i32 s22, 8
	s_cbranch_scc1 .LBB18_408
; %bb.399:
	;; [unrolled: 3-line block ×3, first 2 shown]
	s_cmp_gt_i32 s22, 9
	s_cbranch_scc0 .LBB18_402
; %bb.401:
	v_cvt_f64_f32_e32 v[9:10], v1
	v_mov_b32_e32 v11, 0
	s_mov_b32 s23, 0
	v_mov_b32_e32 v12, v11
	global_store_dwordx4 v[3:4], v[9:12], off
.LBB18_402:
	s_andn2_b32 vcc_lo, exec_lo, s23
	s_cbranch_vccnz .LBB18_404
; %bb.403:
	v_mov_b32_e32 v2, 0
	global_store_dwordx2 v[3:4], v[1:2], off
.LBB18_404:
	s_mov_b32 s23, 0
.LBB18_405:
	s_andn2_b32 vcc_lo, exec_lo, s23
	s_cbranch_vccnz .LBB18_407
; %bb.406:
	v_cvt_f16_f32_e32 v0, v1
	v_and_b32_e32 v0, 0xffff, v0
	global_store_dword v[3:4], v0, off
.LBB18_407:
	s_mov_b32 s23, 0
.LBB18_408:
	s_andn2_b32 vcc_lo, exec_lo, s23
	s_cbranch_vccnz .LBB18_417
; %bb.409:
	s_cmp_lt_i32 s22, 6
	s_mov_b32 s23, -1
	s_cbranch_scc1 .LBB18_415
; %bb.410:
	s_cmp_gt_i32 s22, 6
	s_cbranch_scc0 .LBB18_412
; %bb.411:
	v_cvt_f64_f32_e32 v[5:6], v1
	s_mov_b32 s23, 0
	global_store_dwordx2 v[3:4], v[5:6], off
.LBB18_412:
	s_andn2_b32 vcc_lo, exec_lo, s23
	s_cbranch_vccnz .LBB18_414
; %bb.413:
	global_store_dword v[3:4], v1, off
.LBB18_414:
	s_mov_b32 s23, 0
.LBB18_415:
	s_andn2_b32 vcc_lo, exec_lo, s23
	s_cbranch_vccnz .LBB18_417
; %bb.416:
	v_cvt_f16_f32_e32 v0, v1
	global_store_short v[3:4], v0, off
.LBB18_417:
	s_mov_b32 s23, 0
.LBB18_418:
	s_andn2_b32 vcc_lo, exec_lo, s23
	s_cbranch_vccnz .LBB18_434
; %bb.419:
	s_cmp_lt_i32 s22, 2
	s_mov_b32 s23, -1
	s_cbranch_scc1 .LBB18_429
; %bb.420:
	s_cmp_lt_i32 s22, 3
	s_cbranch_scc1 .LBB18_426
; %bb.421:
	s_cmp_gt_i32 s22, 3
	s_cbranch_scc0 .LBB18_423
; %bb.422:
	v_trunc_f32_e32 v0, v1
	s_mov_b32 s23, 0
	v_mul_f32_e64 v2, 0x2f800000, |v0|
	v_floor_f32_e32 v2, v2
	v_fma_f32 v5, 0xcf800000, v2, |v0|
	v_ashrrev_i32_e32 v0, 31, v0
	v_cvt_u32_f32_e32 v2, v2
	v_cvt_u32_f32_e32 v5, v5
	v_xor_b32_e32 v2, v2, v0
	v_xor_b32_e32 v5, v5, v0
	v_sub_co_u32 v5, vcc_lo, v5, v0
	v_sub_co_ci_u32_e64 v6, null, v2, v0, vcc_lo
	global_store_dwordx2 v[3:4], v[5:6], off
.LBB18_423:
	s_andn2_b32 vcc_lo, exec_lo, s23
	s_cbranch_vccnz .LBB18_425
; %bb.424:
	v_cvt_i32_f32_e32 v0, v1
	global_store_dword v[3:4], v0, off
.LBB18_425:
	s_mov_b32 s23, 0
.LBB18_426:
	s_andn2_b32 vcc_lo, exec_lo, s23
	s_cbranch_vccnz .LBB18_428
; %bb.427:
	v_cvt_i32_f32_e32 v0, v1
	global_store_short v[3:4], v0, off
.LBB18_428:
	s_mov_b32 s23, 0
.LBB18_429:
	s_andn2_b32 vcc_lo, exec_lo, s23
	s_cbranch_vccnz .LBB18_434
; %bb.430:
	s_cmp_gt_i32 s22, 0
	s_mov_b32 s22, -1
	s_cbranch_scc0 .LBB18_432
; %bb.431:
	v_cvt_i32_f32_e32 v0, v1
	s_mov_b32 s22, 0
	global_store_byte v[3:4], v0, off
.LBB18_432:
	s_andn2_b32 vcc_lo, exec_lo, s22
	s_cbranch_vccnz .LBB18_434
; %bb.433:
	v_trunc_f32_e32 v0, v1
	v_mul_f32_e64 v1, 0x2f800000, |v0|
	v_floor_f32_e32 v1, v1
	v_fma_f32 v1, 0xcf800000, v1, |v0|
	v_ashrrev_i32_e32 v0, 31, v0
	v_cvt_u32_f32_e32 v1, v1
	v_xor_b32_e32 v1, v1, v0
	v_sub_nc_u32_e32 v0, v1, v0
	global_store_byte v[3:4], v0, off
.LBB18_434:
	s_mov_b32 s39, -1
.LBB18_435:
	s_andn2_b32 vcc_lo, exec_lo, s39
	s_cbranch_vccnz .LBB18_437
; %bb.436:
	v_add_nc_u32_e32 v8, 0x80, v8
	s_mov_b32 s22, -1
	s_branch .LBB18_550
.LBB18_437:
	s_mov_b32 s22, 0
	s_branch .LBB18_549
.LBB18_438:
	s_mov_b32 s1, -1
                                        ; implicit-def: $vgpr3
.LBB18_439:
	s_mov_b32 s23, 0
.LBB18_440:
	s_and_b32 vcc_lo, exec_lo, s23
	s_cbranch_vccz .LBB18_444
; %bb.441:
	s_cmp_eq_u32 s0, 29
	s_cbranch_scc0 .LBB18_443
; %bb.442:
	global_load_dwordx2 v[3:4], v[1:2], off
	s_mov_b32 s22, -1
	s_mov_b32 s1, 0
	s_mov_b32 s23, 0
	s_waitcnt vmcnt(0)
	v_ffbh_u32_e32 v5, v4
	v_min_u32_e32 v5, 32, v5
	v_lshlrev_b64 v[3:4], v5, v[3:4]
	v_min_u32_e32 v3, 1, v3
	v_or_b32_e32 v3, v4, v3
	v_sub_nc_u32_e32 v4, 32, v5
	v_cvt_f32_u32_e32 v3, v3
	v_ldexp_f32 v3, v3, v4
	s_branch .LBB18_445
.LBB18_443:
	s_mov_b32 s1, -1
                                        ; implicit-def: $vgpr3
.LBB18_444:
	s_mov_b32 s23, 0
.LBB18_445:
	s_and_b32 vcc_lo, exec_lo, s23
	s_cbranch_vccz .LBB18_463
; %bb.446:
	s_cmp_lt_i32 s0, 27
	s_cbranch_scc1 .LBB18_449
; %bb.447:
	s_cmp_gt_i32 s0, 27
	s_cbranch_scc0 .LBB18_450
; %bb.448:
	global_load_dword v3, v[1:2], off
	s_mov_b32 s22, 0
	s_waitcnt vmcnt(0)
	v_cvt_f32_u32_e32 v3, v3
	s_branch .LBB18_451
.LBB18_449:
	s_mov_b32 s22, -1
                                        ; implicit-def: $vgpr3
	s_branch .LBB18_454
.LBB18_450:
	s_mov_b32 s22, -1
                                        ; implicit-def: $vgpr3
.LBB18_451:
	s_andn2_b32 vcc_lo, exec_lo, s22
	s_cbranch_vccnz .LBB18_453
; %bb.452:
	global_load_ushort v3, v[1:2], off
	s_waitcnt vmcnt(0)
	v_cvt_f32_u32_e32 v3, v3
.LBB18_453:
	s_mov_b32 s22, 0
.LBB18_454:
	s_andn2_b32 vcc_lo, exec_lo, s22
	s_cbranch_vccnz .LBB18_462
; %bb.455:
	global_load_ubyte v4, v[1:2], off
	s_mov_b32 s22, 0
	s_mov_b32 s23, exec_lo
	s_waitcnt vmcnt(0)
	v_cmpx_lt_i16_e32 0x7f, v4
	s_xor_b32 s23, exec_lo, s23
	s_cbranch_execz .LBB18_476
; %bb.456:
	s_mov_b32 s22, -1
	s_mov_b32 s39, exec_lo
	v_cmpx_eq_u16_e32 0x80, v4
; %bb.457:
	s_xor_b32 s22, exec_lo, -1
; %bb.458:
	s_or_b32 exec_lo, exec_lo, s39
	s_and_b32 s22, s22, exec_lo
	s_or_saveexec_b32 s23, s23
	v_mov_b32_e32 v3, 0x7f800001
	s_xor_b32 exec_lo, exec_lo, s23
	s_cbranch_execnz .LBB18_477
.LBB18_459:
	s_or_b32 exec_lo, exec_lo, s23
	s_and_saveexec_b32 s23, s22
	s_cbranch_execz .LBB18_461
.LBB18_460:
	v_and_b32_e32 v3, 0xffff, v4
	v_lshlrev_b32_e32 v4, 24, v4
	v_and_b32_e32 v5, 7, v3
	v_bfe_u32 v9, v3, 3, 4
	v_and_b32_e32 v4, 0x80000000, v4
	v_ffbh_u32_e32 v6, v5
	v_cmp_eq_u32_e32 vcc_lo, 0, v9
	v_min_u32_e32 v6, 32, v6
	v_subrev_nc_u32_e32 v7, 28, v6
	v_sub_nc_u32_e32 v6, 29, v6
	v_lshlrev_b32_e32 v3, v7, v3
	v_cndmask_b32_e32 v6, v9, v6, vcc_lo
	v_and_b32_e32 v3, 7, v3
	v_cndmask_b32_e32 v3, v5, v3, vcc_lo
	v_lshl_add_u32 v5, v6, 23, 0x3b800000
	v_lshlrev_b32_e32 v3, 20, v3
	v_or3_b32 v3, v4, v5, v3
.LBB18_461:
	s_or_b32 exec_lo, exec_lo, s23
.LBB18_462:
	s_mov_b32 s22, -1
.LBB18_463:
	s_mov_b32 s23, 0
.LBB18_464:
	s_and_b32 vcc_lo, exec_lo, s23
	s_cbranch_vccz .LBB18_499
; %bb.465:
	s_cmp_gt_i32 s0, 22
	s_cbranch_scc0 .LBB18_475
; %bb.466:
	s_cmp_lt_i32 s0, 24
	s_cbranch_scc1 .LBB18_478
; %bb.467:
	s_cmp_gt_i32 s0, 24
	s_cbranch_scc0 .LBB18_479
; %bb.468:
	global_load_ubyte v4, v[1:2], off
	s_mov_b32 s22, 0
	s_mov_b32 s23, exec_lo
	s_waitcnt vmcnt(0)
	v_cmpx_lt_i16_e32 0x7f, v4
	s_xor_b32 s23, exec_lo, s23
	s_cbranch_execz .LBB18_491
; %bb.469:
	s_mov_b32 s22, -1
	s_mov_b32 s39, exec_lo
	v_cmpx_eq_u16_e32 0x80, v4
; %bb.470:
	s_xor_b32 s22, exec_lo, -1
; %bb.471:
	s_or_b32 exec_lo, exec_lo, s39
	s_and_b32 s22, s22, exec_lo
	s_or_saveexec_b32 s23, s23
	v_mov_b32_e32 v3, 0x7f800001
	s_xor_b32 exec_lo, exec_lo, s23
	s_cbranch_execnz .LBB18_492
.LBB18_472:
	s_or_b32 exec_lo, exec_lo, s23
	s_and_saveexec_b32 s23, s22
	s_cbranch_execz .LBB18_474
.LBB18_473:
	v_and_b32_e32 v3, 0xffff, v4
	v_lshlrev_b32_e32 v4, 24, v4
	v_and_b32_e32 v5, 3, v3
	v_bfe_u32 v9, v3, 2, 5
	v_and_b32_e32 v4, 0x80000000, v4
	v_ffbh_u32_e32 v6, v5
	v_cmp_eq_u32_e32 vcc_lo, 0, v9
	v_min_u32_e32 v6, 32, v6
	v_subrev_nc_u32_e32 v7, 29, v6
	v_sub_nc_u32_e32 v6, 30, v6
	v_lshlrev_b32_e32 v3, v7, v3
	v_cndmask_b32_e32 v6, v9, v6, vcc_lo
	v_and_b32_e32 v3, 3, v3
	v_cndmask_b32_e32 v3, v5, v3, vcc_lo
	v_lshl_add_u32 v5, v6, 23, 0x37800000
	v_lshlrev_b32_e32 v3, 21, v3
	v_or3_b32 v3, v4, v5, v3
.LBB18_474:
	s_or_b32 exec_lo, exec_lo, s23
	s_mov_b32 s22, 0
	s_branch .LBB18_480
.LBB18_475:
	s_mov_b32 s23, -1
                                        ; implicit-def: $vgpr3
	s_branch .LBB18_486
.LBB18_476:
	s_or_saveexec_b32 s23, s23
	v_mov_b32_e32 v3, 0x7f800001
	s_xor_b32 exec_lo, exec_lo, s23
	s_cbranch_execz .LBB18_459
.LBB18_477:
	v_cmp_ne_u16_e32 vcc_lo, 0, v4
	v_mov_b32_e32 v3, 0
	s_andn2_b32 s22, s22, exec_lo
	s_and_b32 s39, vcc_lo, exec_lo
	s_or_b32 s22, s22, s39
	s_or_b32 exec_lo, exec_lo, s23
	s_and_saveexec_b32 s23, s22
	s_cbranch_execnz .LBB18_460
	s_branch .LBB18_461
.LBB18_478:
	s_mov_b32 s22, -1
                                        ; implicit-def: $vgpr3
	s_branch .LBB18_483
.LBB18_479:
	s_mov_b32 s22, -1
                                        ; implicit-def: $vgpr3
.LBB18_480:
	s_and_b32 vcc_lo, exec_lo, s22
	s_cbranch_vccz .LBB18_482
; %bb.481:
	global_load_ubyte v3, v[1:2], off
	s_waitcnt vmcnt(0)
	v_lshlrev_b32_e32 v3, 24, v3
	v_and_b32_e32 v4, 0x7f000000, v3
	v_ffbh_u32_e32 v5, v4
	v_add_nc_u32_e32 v7, 0x1000000, v4
	v_cmp_ne_u32_e32 vcc_lo, 0, v4
	v_min_u32_e32 v5, 32, v5
	v_sub_nc_u32_e64 v5, v5, 4 clamp
	v_lshlrev_b32_e32 v6, v5, v4
	v_lshlrev_b32_e32 v5, 23, v5
	v_lshrrev_b32_e32 v6, 4, v6
	v_sub_nc_u32_e32 v5, v6, v5
	v_ashrrev_i32_e32 v6, 8, v7
	v_add_nc_u32_e32 v5, 0x3c000000, v5
	v_and_or_b32 v5, 0x7f800000, v6, v5
	v_cndmask_b32_e32 v4, 0, v5, vcc_lo
	v_and_or_b32 v3, 0x80000000, v3, v4
.LBB18_482:
	s_mov_b32 s22, 0
.LBB18_483:
	s_andn2_b32 vcc_lo, exec_lo, s22
	s_cbranch_vccnz .LBB18_485
; %bb.484:
	global_load_ubyte v3, v[1:2], off
	s_waitcnt vmcnt(0)
	v_lshlrev_b32_e32 v4, 25, v3
	v_lshlrev_b16 v3, 8, v3
	v_lshrrev_b32_e32 v5, 4, v4
	v_and_or_b32 v6, 0x7f00, v3, 0.5
	v_cmp_gt_u32_e32 vcc_lo, 0x8000000, v4
	v_bfe_i32 v3, v3, 0, 16
	v_or_b32_e32 v5, 0x70000000, v5
	v_add_f32_e32 v6, -0.5, v6
	v_mul_f32_e32 v5, 0x7800000, v5
	v_cndmask_b32_e32 v4, v5, v6, vcc_lo
	v_and_or_b32 v3, 0x80000000, v3, v4
.LBB18_485:
	s_mov_b32 s23, 0
	s_mov_b32 s22, -1
.LBB18_486:
	s_andn2_b32 vcc_lo, exec_lo, s23
	s_cbranch_vccnz .LBB18_499
; %bb.487:
	s_cmp_gt_i32 s0, 14
	s_cbranch_scc0 .LBB18_490
; %bb.488:
	s_cmp_eq_u32 s0, 15
	s_cbranch_scc0 .LBB18_493
; %bb.489:
	global_load_ushort v3, v[1:2], off
	s_mov_b32 s22, -1
	s_mov_b32 s1, 0
	s_waitcnt vmcnt(0)
	v_lshlrev_b32_e32 v3, 16, v3
	s_branch .LBB18_494
.LBB18_490:
	s_mov_b32 s23, -1
                                        ; implicit-def: $vgpr3
	s_branch .LBB18_495
.LBB18_491:
	s_or_saveexec_b32 s23, s23
	v_mov_b32_e32 v3, 0x7f800001
	s_xor_b32 exec_lo, exec_lo, s23
	s_cbranch_execz .LBB18_472
.LBB18_492:
	v_cmp_ne_u16_e32 vcc_lo, 0, v4
	v_mov_b32_e32 v3, 0
	s_andn2_b32 s22, s22, exec_lo
	s_and_b32 s39, vcc_lo, exec_lo
	s_or_b32 s22, s22, s39
	s_or_b32 exec_lo, exec_lo, s23
	s_and_saveexec_b32 s23, s22
	s_cbranch_execnz .LBB18_473
	s_branch .LBB18_474
.LBB18_493:
	s_mov_b32 s1, -1
                                        ; implicit-def: $vgpr3
.LBB18_494:
	s_mov_b32 s23, 0
.LBB18_495:
	s_and_b32 vcc_lo, exec_lo, s23
	s_cbranch_vccz .LBB18_499
; %bb.496:
	s_cmp_eq_u32 s0, 11
	s_cbranch_scc0 .LBB18_498
; %bb.497:
	global_load_ubyte v3, v[1:2], off
	s_mov_b32 s1, 0
	s_mov_b32 s22, -1
	s_waitcnt vmcnt(0)
	v_cmp_ne_u16_e32 vcc_lo, 0, v3
	v_cndmask_b32_e64 v3, 0, 1.0, vcc_lo
	s_branch .LBB18_499
.LBB18_498:
	s_mov_b32 s1, -1
                                        ; implicit-def: $vgpr3
.LBB18_499:
	s_branch .LBB18_297
.LBB18_500:
	s_cmp_lt_i32 s0, 5
	s_cbranch_scc1 .LBB18_505
; %bb.501:
	s_cmp_lt_i32 s0, 8
	s_cbranch_scc1 .LBB18_506
; %bb.502:
	;; [unrolled: 3-line block ×3, first 2 shown]
	s_cmp_gt_i32 s0, 9
	s_cbranch_scc0 .LBB18_508
; %bb.504:
	global_load_dwordx2 v[3:4], v[1:2], off
	s_mov_b32 s22, 0
	s_waitcnt vmcnt(0)
	v_cvt_f32_f64_e32 v3, v[3:4]
	s_branch .LBB18_509
.LBB18_505:
	s_mov_b32 s22, -1
                                        ; implicit-def: $vgpr3
	s_branch .LBB18_527
.LBB18_506:
	s_mov_b32 s22, -1
                                        ; implicit-def: $vgpr3
	s_branch .LBB18_515
.LBB18_507:
	s_mov_b32 s22, -1
                                        ; implicit-def: $vgpr3
	s_branch .LBB18_512
.LBB18_508:
	s_mov_b32 s22, -1
                                        ; implicit-def: $vgpr3
.LBB18_509:
	s_andn2_b32 vcc_lo, exec_lo, s22
	s_cbranch_vccnz .LBB18_511
; %bb.510:
	global_load_dword v3, v[1:2], off
.LBB18_511:
	s_mov_b32 s22, 0
.LBB18_512:
	s_andn2_b32 vcc_lo, exec_lo, s22
	s_cbranch_vccnz .LBB18_514
; %bb.513:
	global_load_dword v3, v[1:2], off
	s_waitcnt vmcnt(0)
	v_cvt_f32_f16_e32 v3, v3
.LBB18_514:
	s_mov_b32 s22, 0
.LBB18_515:
	s_andn2_b32 vcc_lo, exec_lo, s22
	s_cbranch_vccnz .LBB18_526
; %bb.516:
	s_cmp_lt_i32 s0, 6
	s_cbranch_scc1 .LBB18_519
; %bb.517:
	s_cmp_gt_i32 s0, 6
	s_cbranch_scc0 .LBB18_520
; %bb.518:
	global_load_dwordx2 v[3:4], v[1:2], off
	s_mov_b32 s22, 0
	s_waitcnt vmcnt(0)
	v_cvt_f32_f64_e32 v3, v[3:4]
	s_branch .LBB18_521
.LBB18_519:
	s_mov_b32 s22, -1
                                        ; implicit-def: $vgpr3
	s_branch .LBB18_524
.LBB18_520:
	s_mov_b32 s22, -1
                                        ; implicit-def: $vgpr3
.LBB18_521:
	s_andn2_b32 vcc_lo, exec_lo, s22
	s_cbranch_vccnz .LBB18_523
; %bb.522:
	global_load_dword v3, v[1:2], off
.LBB18_523:
	s_mov_b32 s22, 0
.LBB18_524:
	s_andn2_b32 vcc_lo, exec_lo, s22
	s_cbranch_vccnz .LBB18_526
; %bb.525:
	global_load_ushort v3, v[1:2], off
	s_waitcnt vmcnt(0)
	v_cvt_f32_f16_e32 v3, v3
.LBB18_526:
	s_mov_b32 s22, 0
.LBB18_527:
	s_andn2_b32 vcc_lo, exec_lo, s22
	s_cbranch_vccnz .LBB18_547
; %bb.528:
	s_cmp_lt_i32 s0, 2
	s_cbranch_scc1 .LBB18_532
; %bb.529:
	s_cmp_lt_i32 s0, 3
	s_cbranch_scc1 .LBB18_533
; %bb.530:
	s_cmp_gt_i32 s0, 3
	s_cbranch_scc0 .LBB18_534
; %bb.531:
	global_load_dwordx2 v[3:4], v[1:2], off
	s_mov_b32 s22, 0
	s_waitcnt vmcnt(0)
	v_xor_b32_e32 v5, v3, v4
	v_ffbh_i32_e32 v6, v4
	v_ashrrev_i32_e32 v5, 31, v5
	v_add_nc_u32_e32 v6, -1, v6
	v_add_nc_u32_e32 v5, 32, v5
	v_min_u32_e32 v5, v6, v5
	v_lshlrev_b64 v[3:4], v5, v[3:4]
	v_min_u32_e32 v3, 1, v3
	v_or_b32_e32 v3, v4, v3
	v_sub_nc_u32_e32 v4, 32, v5
	v_cvt_f32_i32_e32 v3, v3
	v_ldexp_f32 v3, v3, v4
	s_branch .LBB18_535
.LBB18_532:
	s_mov_b32 s22, -1
                                        ; implicit-def: $vgpr3
	s_branch .LBB18_541
.LBB18_533:
	s_mov_b32 s22, -1
                                        ; implicit-def: $vgpr3
	s_branch .LBB18_538
.LBB18_534:
	s_mov_b32 s22, -1
                                        ; implicit-def: $vgpr3
.LBB18_535:
	s_andn2_b32 vcc_lo, exec_lo, s22
	s_cbranch_vccnz .LBB18_537
; %bb.536:
	global_load_dword v3, v[1:2], off
	s_waitcnt vmcnt(0)
	v_cvt_f32_i32_e32 v3, v3
.LBB18_537:
	s_mov_b32 s22, 0
.LBB18_538:
	s_andn2_b32 vcc_lo, exec_lo, s22
	s_cbranch_vccnz .LBB18_540
; %bb.539:
	global_load_sshort v3, v[1:2], off
	s_waitcnt vmcnt(0)
	v_cvt_f32_i32_e32 v3, v3
.LBB18_540:
	s_mov_b32 s22, 0
.LBB18_541:
	s_andn2_b32 vcc_lo, exec_lo, s22
	s_cbranch_vccnz .LBB18_547
; %bb.542:
	s_cmp_gt_i32 s0, 0
	s_mov_b32 s0, 0
	s_cbranch_scc0 .LBB18_544
; %bb.543:
	global_load_sbyte v3, v[1:2], off
	s_waitcnt vmcnt(0)
	v_cvt_f32_i32_e32 v3, v3
	s_branch .LBB18_545
.LBB18_544:
	s_mov_b32 s0, -1
                                        ; implicit-def: $vgpr3
.LBB18_545:
	s_andn2_b32 vcc_lo, exec_lo, s0
	s_cbranch_vccnz .LBB18_547
; %bb.546:
	global_load_ubyte v1, v[1:2], off
	s_waitcnt vmcnt(0)
	v_cvt_f32_ubyte0_e32 v3, v1
.LBB18_547:
	s_branch .LBB18_298
.LBB18_548:
	s_mov_b32 s22, 0
	s_mov_b32 s0, s36
.LBB18_549:
                                        ; implicit-def: $vgpr8
.LBB18_550:
	s_andn2_b32 s23, s36, exec_lo
	s_and_b32 s0, s0, exec_lo
	s_andn2_b32 s39, s37, exec_lo
	s_and_b32 s1, s1, exec_lo
	s_or_b32 s40, s23, s0
	s_or_b32 s39, s39, s1
	s_orn2_b32 s0, s22, exec_lo
.LBB18_551:
	s_or_b32 exec_lo, exec_lo, s41
	s_mov_b32 s1, 0
	s_mov_b32 s23, 0
	;; [unrolled: 1-line block ×3, first 2 shown]
                                        ; implicit-def: $vgpr1_vgpr2
                                        ; implicit-def: $vgpr0
                                        ; implicit-def: $vgpr5
	s_and_saveexec_b32 s41, s0
	s_cbranch_execz .LBB18_932
; %bb.552:
	s_mov_b32 s44, -1
	s_mov_b32 s22, s39
	s_mov_b32 s23, s40
	s_mov_b32 s42, exec_lo
	v_cmpx_gt_i32_e64 s33, v8
	s_cbranch_execz .LBB18_831
; %bb.553:
	s_andn2_b32 vcc_lo, exec_lo, s27
	s_cbranch_vccnz .LBB18_558
; %bb.554:
	s_andn2_b32 vcc_lo, exec_lo, s34
	s_cbranch_vccnz .LBB18_559
; %bb.555:
	s_add_i32 s44, s35, 1
	s_cmp_eq_u32 s25, 2
	s_cbranch_scc1 .LBB18_560
; %bb.556:
	v_mov_b32_e32 v2, 0
	v_mov_b32_e32 v0, 0
	v_mov_b32_e32 v1, v8
	s_and_b32 s43, s44, 28
	s_mov_b32 s45, 0
	s_mov_b64 s[0:1], s[2:3]
	s_mov_b64 s[22:23], s[20:21]
.LBB18_557:                             ; =>This Inner Loop Header: Depth=1
	s_clause 0x1
	s_load_dwordx8 s[48:55], s[0:1], 0x4
	s_load_dwordx4 s[64:67], s[0:1], 0x24
	s_load_dwordx8 s[56:63], s[22:23], 0x0
	s_add_u32 s0, s0, 48
	s_addc_u32 s1, s1, 0
	s_add_i32 s45, s45, 4
	s_add_u32 s22, s22, 32
	s_addc_u32 s23, s23, 0
	s_cmp_eq_u32 s43, s45
	s_waitcnt vmcnt(0) lgkmcnt(0)
	v_mul_hi_u32 v3, s49, v1
	v_add_nc_u32_e32 v3, v1, v3
	v_lshrrev_b32_e32 v3, s50, v3
	v_mul_hi_u32 v4, s52, v3
	v_mul_lo_u32 v6, v3, s48
	v_add_nc_u32_e32 v4, v3, v4
	v_sub_nc_u32_e32 v1, v1, v6
	v_lshrrev_b32_e32 v4, s53, v4
	v_mul_lo_u32 v6, v1, s56
	v_mul_lo_u32 v9, v1, s57
	v_mul_hi_u32 v5, s55, v4
	v_add_nc_u32_e32 v5, v4, v5
	v_lshrrev_b32_e32 v5, s64, v5
	v_mul_hi_u32 v7, s66, v5
	v_mul_lo_u32 v10, v5, s54
	v_add_nc_u32_e32 v1, v5, v7
	v_mul_lo_u32 v7, v4, s51
	v_sub_nc_u32_e32 v4, v4, v10
	v_lshrrev_b32_e32 v1, s67, v1
	v_mul_lo_u32 v10, v4, s60
	v_mul_lo_u32 v4, v4, s61
	v_sub_nc_u32_e32 v3, v3, v7
	v_mul_lo_u32 v11, v1, s65
	v_mul_lo_u32 v7, v3, s58
	;; [unrolled: 1-line block ×3, first 2 shown]
	v_sub_nc_u32_e32 v5, v5, v11
	v_add3_u32 v0, v6, v0, v7
	v_mul_lo_u32 v11, v5, s62
	v_mul_lo_u32 v5, v5, s63
	v_add3_u32 v2, v9, v2, v3
	v_add3_u32 v0, v10, v0, v11
	;; [unrolled: 1-line block ×3, first 2 shown]
	s_cbranch_scc0 .LBB18_557
	s_branch .LBB18_561
.LBB18_558:
	s_mov_b32 s0, -1
                                        ; implicit-def: $vgpr0
                                        ; implicit-def: $vgpr2
	s_branch .LBB18_565
.LBB18_559:
	v_mov_b32_e32 v0, 0
	v_mov_b32_e32 v2, 0
	s_branch .LBB18_564
.LBB18_560:
	v_mov_b32_e32 v0, 0
	v_mov_b32_e32 v2, 0
	;; [unrolled: 1-line block ×3, first 2 shown]
	s_mov_b32 s43, 0
.LBB18_561:
	s_and_b32 s44, s44, 3
	s_cmp_eq_u32 s44, 0
	s_cbranch_scc1 .LBB18_564
; %bb.562:
	s_lshl_b32 s0, s43, 3
	s_mul_i32 s22, s43, 12
	s_add_u32 s0, s2, s0
	s_addc_u32 s1, s3, 0
	s_add_u32 s0, s0, 0xc4
	s_addc_u32 s1, s1, 0
	;; [unrolled: 2-line block ×3, first 2 shown]
	.p2align	6
.LBB18_563:                             ; =>This Inner Loop Header: Depth=1
	s_clause 0x1
	s_load_dwordx2 s[46:47], s[22:23], 0x4
	s_load_dword s43, s[22:23], 0xc
	s_load_dwordx2 s[48:49], s[0:1], 0x0
	s_add_u32 s22, s22, 12
	s_addc_u32 s23, s23, 0
	s_add_u32 s0, s0, 8
	s_addc_u32 s1, s1, 0
	s_add_i32 s44, s44, -1
	s_cmp_lg_u32 s44, 0
	s_waitcnt vmcnt(0) lgkmcnt(0)
	v_mul_hi_u32 v3, s47, v1
	v_add_nc_u32_e32 v3, v1, v3
	v_lshrrev_b32_e32 v4, s43, v3
	v_mul_lo_u32 v3, v4, s46
	v_sub_nc_u32_e32 v3, v1, v3
	v_mad_u64_u32 v[0:1], null, v3, s48, v[0:1]
	v_mad_u64_u32 v[2:3], null, v3, s49, v[2:3]
	v_mov_b32_e32 v1, v4
	s_cbranch_scc1 .LBB18_563
.LBB18_564:
	s_mov_b32 s0, 0
.LBB18_565:
	s_andn2_b32 vcc_lo, exec_lo, s0
	s_cbranch_vccnz .LBB18_568
; %bb.566:
	s_waitcnt lgkmcnt(0)
	v_mul_hi_u32 v0, s17, v8
	s_andn2_b32 vcc_lo, exec_lo, s31
	v_add_nc_u32_e32 v0, v8, v0
	v_lshrrev_b32_e32 v1, s18, v0
	v_mul_lo_u32 v0, v1, s16
	v_sub_nc_u32_e32 v2, v8, v0
	v_mul_lo_u32 v0, v2, s12
	v_mul_lo_u32 v2, v2, s13
	s_cbranch_vccnz .LBB18_568
; %bb.567:
	s_waitcnt vmcnt(0)
	v_mul_hi_u32 v3, s6, v1
	v_add_nc_u32_e32 v3, v1, v3
	v_lshrrev_b32_e32 v3, s7, v3
	v_mul_lo_u32 v3, v3, s19
	v_sub_nc_u32_e32 v3, v1, v3
	v_mad_u64_u32 v[0:1], null, v3, s14, v[0:1]
	v_mad_u64_u32 v[2:3], null, v3, s15, v[2:3]
.LBB18_568:
	s_waitcnt lgkmcnt(0)
	v_add_co_u32 v1, s0, s10, v2
	v_add_co_ci_u32_e64 v2, null, s11, 0, s0
	s_and_b32 s0, 0xffff, s30
	s_cmp_lt_i32 s0, 11
	s_cbranch_scc1 .LBB18_575
; %bb.569:
	s_cmp_gt_i32 s0, 25
	s_cbranch_scc0 .LBB18_576
; %bb.570:
	s_cmp_gt_i32 s0, 28
	s_cbranch_scc0 .LBB18_577
; %bb.571:
	s_cmp_gt_i32 s0, 43
	s_cbranch_scc0 .LBB18_578
; %bb.572:
	s_cmp_gt_i32 s0, 45
	s_cbranch_scc0 .LBB18_581
; %bb.573:
	s_cmp_eq_u32 s0, 46
	s_mov_b32 s23, 0
	s_cbranch_scc0 .LBB18_584
; %bb.574:
	global_load_dword v3, v[1:2], off
	s_mov_b32 s22, -1
	s_mov_b32 s1, 0
	s_waitcnt vmcnt(0)
	v_lshlrev_b32_e32 v3, 16, v3
	s_branch .LBB18_586
.LBB18_575:
	s_mov_b32 s23, -1
	s_mov_b32 s22, 0
	s_mov_b32 s1, s39
                                        ; implicit-def: $vgpr3
	s_branch .LBB18_651
.LBB18_576:
	s_mov_b32 s23, -1
	s_mov_b32 s22, 0
	s_mov_b32 s1, s39
                                        ; implicit-def: $vgpr3
	s_branch .LBB18_615
.LBB18_577:
	s_mov_b32 s23, -1
	s_mov_b32 s22, 0
	s_mov_b32 s1, s39
                                        ; implicit-def: $vgpr3
	s_branch .LBB18_596
.LBB18_578:
	s_mov_b32 s23, -1
	s_mov_b32 s22, 0
	s_mov_b32 s1, s39
                                        ; implicit-def: $vgpr3
	s_branch .LBB18_591
.LBB18_579:
	s_andn2_saveexec_b32 s42, s42
	s_cbranch_execz .LBB18_348
.LBB18_580:
	v_add_f32_e64 v0, 0x46000000, |v1|
	s_andn2_b32 s40, s40, exec_lo
	v_and_b32_e32 v0, 0xff, v0
	v_cmp_ne_u32_e32 vcc_lo, 0, v0
	s_and_b32 s43, vcc_lo, exec_lo
	s_or_b32 s40, s40, s43
	s_or_b32 exec_lo, exec_lo, s42
	v_mov_b32_e32 v2, 0
	s_and_saveexec_b32 s42, s40
	s_cbranch_execnz .LBB18_349
	s_branch .LBB18_350
.LBB18_581:
	s_mov_b32 s23, -1
	s_mov_b32 s22, 0
	s_mov_b32 s1, s39
	s_branch .LBB18_585
.LBB18_582:
	s_andn2_saveexec_b32 s42, s42
	s_cbranch_execz .LBB18_361
.LBB18_583:
	v_add_f32_e64 v0, 0x42800000, |v1|
	s_andn2_b32 s40, s40, exec_lo
	v_and_b32_e32 v0, 0xff, v0
	v_cmp_ne_u32_e32 vcc_lo, 0, v0
	s_and_b32 s43, vcc_lo, exec_lo
	s_or_b32 s40, s40, s43
	s_or_b32 exec_lo, exec_lo, s42
	v_mov_b32_e32 v2, 0
	s_and_saveexec_b32 s42, s40
	s_cbranch_execnz .LBB18_362
	s_branch .LBB18_363
.LBB18_584:
	s_mov_b32 s1, -1
	s_mov_b32 s22, 0
.LBB18_585:
                                        ; implicit-def: $vgpr3
.LBB18_586:
	s_and_b32 vcc_lo, exec_lo, s23
	s_cbranch_vccz .LBB18_590
; %bb.587:
	s_cmp_eq_u32 s0, 44
	s_cbranch_scc0 .LBB18_589
; %bb.588:
	global_load_ubyte v3, v[1:2], off
	s_mov_b32 s1, 0
	s_mov_b32 s22, -1
	s_waitcnt vmcnt(0)
	v_lshlrev_b32_e32 v4, 23, v3
	v_cmp_ne_u32_e32 vcc_lo, 0xff, v3
	v_cndmask_b32_e32 v4, 0x7f800001, v4, vcc_lo
	v_cmp_ne_u32_e32 vcc_lo, 0, v3
	v_cndmask_b32_e32 v3, 0x400000, v4, vcc_lo
	s_branch .LBB18_590
.LBB18_589:
	s_mov_b32 s1, -1
                                        ; implicit-def: $vgpr3
.LBB18_590:
	s_mov_b32 s23, 0
.LBB18_591:
	s_and_b32 vcc_lo, exec_lo, s23
	s_cbranch_vccz .LBB18_595
; %bb.592:
	s_cmp_eq_u32 s0, 29
	s_cbranch_scc0 .LBB18_594
; %bb.593:
	global_load_dwordx2 v[3:4], v[1:2], off
	s_mov_b32 s22, -1
	s_mov_b32 s1, 0
	s_mov_b32 s23, 0
	s_waitcnt vmcnt(0)
	v_ffbh_u32_e32 v5, v4
	v_min_u32_e32 v5, 32, v5
	v_lshlrev_b64 v[3:4], v5, v[3:4]
	v_min_u32_e32 v3, 1, v3
	v_or_b32_e32 v3, v4, v3
	v_sub_nc_u32_e32 v4, 32, v5
	v_cvt_f32_u32_e32 v3, v3
	v_ldexp_f32 v3, v3, v4
	s_branch .LBB18_596
.LBB18_594:
	s_mov_b32 s1, -1
                                        ; implicit-def: $vgpr3
.LBB18_595:
	s_mov_b32 s23, 0
.LBB18_596:
	s_and_b32 vcc_lo, exec_lo, s23
	s_cbranch_vccz .LBB18_614
; %bb.597:
	s_cmp_lt_i32 s0, 27
	s_cbranch_scc1 .LBB18_600
; %bb.598:
	s_cmp_gt_i32 s0, 27
	s_cbranch_scc0 .LBB18_601
; %bb.599:
	global_load_dword v3, v[1:2], off
	s_mov_b32 s22, 0
	s_waitcnt vmcnt(0)
	v_cvt_f32_u32_e32 v3, v3
	s_branch .LBB18_602
.LBB18_600:
	s_mov_b32 s22, -1
                                        ; implicit-def: $vgpr3
	s_branch .LBB18_605
.LBB18_601:
	s_mov_b32 s22, -1
                                        ; implicit-def: $vgpr3
.LBB18_602:
	s_andn2_b32 vcc_lo, exec_lo, s22
	s_cbranch_vccnz .LBB18_604
; %bb.603:
	global_load_ushort v3, v[1:2], off
	s_waitcnt vmcnt(0)
	v_cvt_f32_u32_e32 v3, v3
.LBB18_604:
	s_mov_b32 s22, 0
.LBB18_605:
	s_andn2_b32 vcc_lo, exec_lo, s22
	s_cbranch_vccnz .LBB18_613
; %bb.606:
	global_load_ubyte v4, v[1:2], off
	s_mov_b32 s22, 0
	s_mov_b32 s23, exec_lo
	s_waitcnt vmcnt(0)
	v_cmpx_lt_i16_e32 0x7f, v4
	s_xor_b32 s23, exec_lo, s23
	s_cbranch_execz .LBB18_627
; %bb.607:
	s_mov_b32 s22, -1
	s_mov_b32 s43, exec_lo
	v_cmpx_eq_u16_e32 0x80, v4
; %bb.608:
	s_xor_b32 s22, exec_lo, -1
; %bb.609:
	s_or_b32 exec_lo, exec_lo, s43
	s_and_b32 s22, s22, exec_lo
	s_or_saveexec_b32 s23, s23
	v_mov_b32_e32 v3, 0x7f800001
	s_xor_b32 exec_lo, exec_lo, s23
	s_cbranch_execnz .LBB18_628
.LBB18_610:
	s_or_b32 exec_lo, exec_lo, s23
	s_and_saveexec_b32 s23, s22
	s_cbranch_execz .LBB18_612
.LBB18_611:
	v_and_b32_e32 v3, 0xffff, v4
	v_lshlrev_b32_e32 v4, 24, v4
	v_and_b32_e32 v5, 7, v3
	v_bfe_u32 v9, v3, 3, 4
	v_and_b32_e32 v4, 0x80000000, v4
	v_ffbh_u32_e32 v6, v5
	v_cmp_eq_u32_e32 vcc_lo, 0, v9
	v_min_u32_e32 v6, 32, v6
	v_subrev_nc_u32_e32 v7, 28, v6
	v_sub_nc_u32_e32 v6, 29, v6
	v_lshlrev_b32_e32 v3, v7, v3
	v_cndmask_b32_e32 v6, v9, v6, vcc_lo
	v_and_b32_e32 v3, 7, v3
	v_cndmask_b32_e32 v3, v5, v3, vcc_lo
	v_lshl_add_u32 v5, v6, 23, 0x3b800000
	v_lshlrev_b32_e32 v3, 20, v3
	v_or3_b32 v3, v4, v5, v3
.LBB18_612:
	s_or_b32 exec_lo, exec_lo, s23
.LBB18_613:
	s_mov_b32 s22, -1
.LBB18_614:
	s_mov_b32 s23, 0
.LBB18_615:
	s_and_b32 vcc_lo, exec_lo, s23
	s_cbranch_vccz .LBB18_650
; %bb.616:
	s_cmp_gt_i32 s0, 22
	s_cbranch_scc0 .LBB18_626
; %bb.617:
	s_cmp_lt_i32 s0, 24
	s_cbranch_scc1 .LBB18_629
; %bb.618:
	s_cmp_gt_i32 s0, 24
	s_cbranch_scc0 .LBB18_630
; %bb.619:
	global_load_ubyte v4, v[1:2], off
	s_mov_b32 s22, 0
	s_mov_b32 s23, exec_lo
	s_waitcnt vmcnt(0)
	v_cmpx_lt_i16_e32 0x7f, v4
	s_xor_b32 s23, exec_lo, s23
	s_cbranch_execz .LBB18_642
; %bb.620:
	s_mov_b32 s22, -1
	s_mov_b32 s43, exec_lo
	v_cmpx_eq_u16_e32 0x80, v4
; %bb.621:
	s_xor_b32 s22, exec_lo, -1
; %bb.622:
	s_or_b32 exec_lo, exec_lo, s43
	s_and_b32 s22, s22, exec_lo
	s_or_saveexec_b32 s23, s23
	v_mov_b32_e32 v3, 0x7f800001
	s_xor_b32 exec_lo, exec_lo, s23
	s_cbranch_execnz .LBB18_643
.LBB18_623:
	s_or_b32 exec_lo, exec_lo, s23
	s_and_saveexec_b32 s23, s22
	s_cbranch_execz .LBB18_625
.LBB18_624:
	v_and_b32_e32 v3, 0xffff, v4
	v_lshlrev_b32_e32 v4, 24, v4
	v_and_b32_e32 v5, 3, v3
	v_bfe_u32 v9, v3, 2, 5
	v_and_b32_e32 v4, 0x80000000, v4
	v_ffbh_u32_e32 v6, v5
	v_cmp_eq_u32_e32 vcc_lo, 0, v9
	v_min_u32_e32 v6, 32, v6
	v_subrev_nc_u32_e32 v7, 29, v6
	v_sub_nc_u32_e32 v6, 30, v6
	v_lshlrev_b32_e32 v3, v7, v3
	v_cndmask_b32_e32 v6, v9, v6, vcc_lo
	v_and_b32_e32 v3, 3, v3
	v_cndmask_b32_e32 v3, v5, v3, vcc_lo
	v_lshl_add_u32 v5, v6, 23, 0x37800000
	v_lshlrev_b32_e32 v3, 21, v3
	v_or3_b32 v3, v4, v5, v3
.LBB18_625:
	s_or_b32 exec_lo, exec_lo, s23
	s_mov_b32 s22, 0
	s_branch .LBB18_631
.LBB18_626:
	s_mov_b32 s23, -1
                                        ; implicit-def: $vgpr3
	s_branch .LBB18_637
.LBB18_627:
	s_or_saveexec_b32 s23, s23
	v_mov_b32_e32 v3, 0x7f800001
	s_xor_b32 exec_lo, exec_lo, s23
	s_cbranch_execz .LBB18_610
.LBB18_628:
	v_cmp_ne_u16_e32 vcc_lo, 0, v4
	v_mov_b32_e32 v3, 0
	s_andn2_b32 s22, s22, exec_lo
	s_and_b32 s43, vcc_lo, exec_lo
	s_or_b32 s22, s22, s43
	s_or_b32 exec_lo, exec_lo, s23
	s_and_saveexec_b32 s23, s22
	s_cbranch_execnz .LBB18_611
	s_branch .LBB18_612
.LBB18_629:
	s_mov_b32 s22, -1
                                        ; implicit-def: $vgpr3
	s_branch .LBB18_634
.LBB18_630:
	s_mov_b32 s22, -1
                                        ; implicit-def: $vgpr3
.LBB18_631:
	s_and_b32 vcc_lo, exec_lo, s22
	s_cbranch_vccz .LBB18_633
; %bb.632:
	global_load_ubyte v3, v[1:2], off
	s_waitcnt vmcnt(0)
	v_lshlrev_b32_e32 v3, 24, v3
	v_and_b32_e32 v4, 0x7f000000, v3
	v_ffbh_u32_e32 v5, v4
	v_add_nc_u32_e32 v7, 0x1000000, v4
	v_cmp_ne_u32_e32 vcc_lo, 0, v4
	v_min_u32_e32 v5, 32, v5
	v_sub_nc_u32_e64 v5, v5, 4 clamp
	v_lshlrev_b32_e32 v6, v5, v4
	v_lshlrev_b32_e32 v5, 23, v5
	v_lshrrev_b32_e32 v6, 4, v6
	v_sub_nc_u32_e32 v5, v6, v5
	v_ashrrev_i32_e32 v6, 8, v7
	v_add_nc_u32_e32 v5, 0x3c000000, v5
	v_and_or_b32 v5, 0x7f800000, v6, v5
	v_cndmask_b32_e32 v4, 0, v5, vcc_lo
	v_and_or_b32 v3, 0x80000000, v3, v4
.LBB18_633:
	s_mov_b32 s22, 0
.LBB18_634:
	s_andn2_b32 vcc_lo, exec_lo, s22
	s_cbranch_vccnz .LBB18_636
; %bb.635:
	global_load_ubyte v3, v[1:2], off
	s_waitcnt vmcnt(0)
	v_lshlrev_b32_e32 v4, 25, v3
	v_lshlrev_b16 v3, 8, v3
	v_lshrrev_b32_e32 v5, 4, v4
	v_and_or_b32 v6, 0x7f00, v3, 0.5
	v_cmp_gt_u32_e32 vcc_lo, 0x8000000, v4
	v_bfe_i32 v3, v3, 0, 16
	v_or_b32_e32 v5, 0x70000000, v5
	v_add_f32_e32 v6, -0.5, v6
	v_mul_f32_e32 v5, 0x7800000, v5
	v_cndmask_b32_e32 v4, v5, v6, vcc_lo
	v_and_or_b32 v3, 0x80000000, v3, v4
.LBB18_636:
	s_mov_b32 s23, 0
	s_mov_b32 s22, -1
.LBB18_637:
	s_andn2_b32 vcc_lo, exec_lo, s23
	s_cbranch_vccnz .LBB18_650
; %bb.638:
	s_cmp_gt_i32 s0, 14
	s_cbranch_scc0 .LBB18_641
; %bb.639:
	s_cmp_eq_u32 s0, 15
	s_cbranch_scc0 .LBB18_644
; %bb.640:
	global_load_ushort v3, v[1:2], off
	s_mov_b32 s22, -1
	s_mov_b32 s1, 0
	s_waitcnt vmcnt(0)
	v_lshlrev_b32_e32 v3, 16, v3
	s_branch .LBB18_645
.LBB18_641:
	s_mov_b32 s23, -1
                                        ; implicit-def: $vgpr3
	s_branch .LBB18_646
.LBB18_642:
	s_or_saveexec_b32 s23, s23
	v_mov_b32_e32 v3, 0x7f800001
	s_xor_b32 exec_lo, exec_lo, s23
	s_cbranch_execz .LBB18_623
.LBB18_643:
	v_cmp_ne_u16_e32 vcc_lo, 0, v4
	v_mov_b32_e32 v3, 0
	s_andn2_b32 s22, s22, exec_lo
	s_and_b32 s43, vcc_lo, exec_lo
	s_or_b32 s22, s22, s43
	s_or_b32 exec_lo, exec_lo, s23
	s_and_saveexec_b32 s23, s22
	s_cbranch_execnz .LBB18_624
	s_branch .LBB18_625
.LBB18_644:
	s_mov_b32 s1, -1
                                        ; implicit-def: $vgpr3
.LBB18_645:
	s_mov_b32 s23, 0
.LBB18_646:
	s_and_b32 vcc_lo, exec_lo, s23
	s_cbranch_vccz .LBB18_650
; %bb.647:
	s_cmp_eq_u32 s0, 11
	s_cbranch_scc0 .LBB18_649
; %bb.648:
	global_load_ubyte v3, v[1:2], off
	s_mov_b32 s1, 0
	s_mov_b32 s22, -1
	s_waitcnt vmcnt(0)
	v_cmp_ne_u16_e32 vcc_lo, 0, v3
	v_cndmask_b32_e64 v3, 0, 1.0, vcc_lo
	s_branch .LBB18_650
.LBB18_649:
	s_mov_b32 s1, -1
                                        ; implicit-def: $vgpr3
.LBB18_650:
	s_mov_b32 s23, 0
.LBB18_651:
	s_and_b32 vcc_lo, exec_lo, s23
	s_cbranch_vccz .LBB18_700
; %bb.652:
	s_cmp_lt_i32 s0, 5
	s_cbranch_scc1 .LBB18_657
; %bb.653:
	s_cmp_lt_i32 s0, 8
	s_cbranch_scc1 .LBB18_658
	;; [unrolled: 3-line block ×3, first 2 shown]
; %bb.655:
	s_cmp_gt_i32 s0, 9
	s_cbranch_scc0 .LBB18_660
; %bb.656:
	global_load_dwordx2 v[3:4], v[1:2], off
	s_mov_b32 s22, 0
	s_waitcnt vmcnt(0)
	v_cvt_f32_f64_e32 v3, v[3:4]
	s_branch .LBB18_661
.LBB18_657:
	s_mov_b32 s22, -1
                                        ; implicit-def: $vgpr3
	s_branch .LBB18_679
.LBB18_658:
	s_mov_b32 s22, -1
                                        ; implicit-def: $vgpr3
	s_branch .LBB18_667
.LBB18_659:
	s_mov_b32 s22, -1
                                        ; implicit-def: $vgpr3
	s_branch .LBB18_664
.LBB18_660:
	s_mov_b32 s22, -1
                                        ; implicit-def: $vgpr3
.LBB18_661:
	s_andn2_b32 vcc_lo, exec_lo, s22
	s_cbranch_vccnz .LBB18_663
; %bb.662:
	global_load_dword v3, v[1:2], off
.LBB18_663:
	s_mov_b32 s22, 0
.LBB18_664:
	s_andn2_b32 vcc_lo, exec_lo, s22
	s_cbranch_vccnz .LBB18_666
; %bb.665:
	global_load_dword v3, v[1:2], off
	s_waitcnt vmcnt(0)
	v_cvt_f32_f16_e32 v3, v3
.LBB18_666:
	s_mov_b32 s22, 0
.LBB18_667:
	s_andn2_b32 vcc_lo, exec_lo, s22
	s_cbranch_vccnz .LBB18_678
; %bb.668:
	s_cmp_lt_i32 s0, 6
	s_cbranch_scc1 .LBB18_671
; %bb.669:
	s_cmp_gt_i32 s0, 6
	s_cbranch_scc0 .LBB18_672
; %bb.670:
	global_load_dwordx2 v[3:4], v[1:2], off
	s_mov_b32 s22, 0
	s_waitcnt vmcnt(0)
	v_cvt_f32_f64_e32 v3, v[3:4]
	s_branch .LBB18_673
.LBB18_671:
	s_mov_b32 s22, -1
                                        ; implicit-def: $vgpr3
	s_branch .LBB18_676
.LBB18_672:
	s_mov_b32 s22, -1
                                        ; implicit-def: $vgpr3
.LBB18_673:
	s_andn2_b32 vcc_lo, exec_lo, s22
	s_cbranch_vccnz .LBB18_675
; %bb.674:
	global_load_dword v3, v[1:2], off
.LBB18_675:
	s_mov_b32 s22, 0
.LBB18_676:
	s_andn2_b32 vcc_lo, exec_lo, s22
	s_cbranch_vccnz .LBB18_678
; %bb.677:
	global_load_ushort v3, v[1:2], off
	s_waitcnt vmcnt(0)
	v_cvt_f32_f16_e32 v3, v3
.LBB18_678:
	s_mov_b32 s22, 0
.LBB18_679:
	s_andn2_b32 vcc_lo, exec_lo, s22
	s_cbranch_vccnz .LBB18_699
; %bb.680:
	s_cmp_lt_i32 s0, 2
	s_cbranch_scc1 .LBB18_684
; %bb.681:
	s_cmp_lt_i32 s0, 3
	s_cbranch_scc1 .LBB18_685
; %bb.682:
	s_cmp_gt_i32 s0, 3
	s_cbranch_scc0 .LBB18_686
; %bb.683:
	global_load_dwordx2 v[3:4], v[1:2], off
	s_mov_b32 s22, 0
	s_waitcnt vmcnt(0)
	v_xor_b32_e32 v5, v3, v4
	v_ffbh_i32_e32 v6, v4
	v_ashrrev_i32_e32 v5, 31, v5
	v_add_nc_u32_e32 v6, -1, v6
	v_add_nc_u32_e32 v5, 32, v5
	v_min_u32_e32 v5, v6, v5
	v_lshlrev_b64 v[3:4], v5, v[3:4]
	v_min_u32_e32 v3, 1, v3
	v_or_b32_e32 v3, v4, v3
	v_sub_nc_u32_e32 v4, 32, v5
	v_cvt_f32_i32_e32 v3, v3
	v_ldexp_f32 v3, v3, v4
	s_branch .LBB18_687
.LBB18_684:
	s_mov_b32 s22, -1
                                        ; implicit-def: $vgpr3
	s_branch .LBB18_693
.LBB18_685:
	s_mov_b32 s22, -1
                                        ; implicit-def: $vgpr3
	s_branch .LBB18_690
.LBB18_686:
	s_mov_b32 s22, -1
                                        ; implicit-def: $vgpr3
.LBB18_687:
	s_andn2_b32 vcc_lo, exec_lo, s22
	s_cbranch_vccnz .LBB18_689
; %bb.688:
	global_load_dword v3, v[1:2], off
	s_waitcnt vmcnt(0)
	v_cvt_f32_i32_e32 v3, v3
.LBB18_689:
	s_mov_b32 s22, 0
.LBB18_690:
	s_andn2_b32 vcc_lo, exec_lo, s22
	s_cbranch_vccnz .LBB18_692
; %bb.691:
	global_load_sshort v3, v[1:2], off
	s_waitcnt vmcnt(0)
	v_cvt_f32_i32_e32 v3, v3
.LBB18_692:
	s_mov_b32 s22, 0
.LBB18_693:
	s_andn2_b32 vcc_lo, exec_lo, s22
	s_cbranch_vccnz .LBB18_699
; %bb.694:
	s_cmp_gt_i32 s0, 0
	s_mov_b32 s0, 0
	s_cbranch_scc0 .LBB18_696
; %bb.695:
	global_load_sbyte v3, v[1:2], off
	s_waitcnt vmcnt(0)
	v_cvt_f32_i32_e32 v3, v3
	s_branch .LBB18_697
.LBB18_696:
	s_mov_b32 s0, -1
                                        ; implicit-def: $vgpr3
.LBB18_697:
	s_andn2_b32 vcc_lo, exec_lo, s0
	s_cbranch_vccnz .LBB18_699
; %bb.698:
	global_load_ubyte v1, v[1:2], off
	s_waitcnt vmcnt(0)
	v_cvt_f32_ubyte0_e32 v3, v1
.LBB18_699:
	s_mov_b32 s22, -1
.LBB18_700:
	s_andn2_b32 vcc_lo, exec_lo, s22
	s_cbranch_vccnz .LBB18_712
; %bb.701:
	s_waitcnt vmcnt(0)
	v_cmp_ge_f32_e64 s0, 0x41000000, |v3|
                                        ; implicit-def: $vgpr1
	s_and_saveexec_b32 s22, s0
	s_xor_b32 s0, exec_lo, s22
	s_cbranch_execz .LBB18_703
; %bb.702:
	v_fma_f32 v1, |v3|, 0.5, -2.0
	s_mov_b32 s22, 0xa2a2e5b9
	v_mul_f32_e64 v5, 0x3fb8aa3b, |v3|
	v_cmp_ngt_f32_e64 vcc_lo, 0xc2ce8ed0, |v3|
	v_fmaak_f32 v2, s22, v1, 0x24199b15
	v_rndne_f32_e32 v6, v5
	v_fma_f32 v7, 0x3fb8aa3b, |v3|, -v5
	v_fmaak_f32 v4, v1, v2, 0x22a2e5b9
	v_sub_f32_e32 v5, v5, v6
	v_fma_f32 v7, 0x32a5705f, |v3|, v7
	v_cvt_i32_f32_e32 v6, v6
	v_add_f32_e32 v4, 0xa58c275c, v4
	v_add_f32_e32 v5, v5, v7
	v_fma_f32 v2, v1, v4, -v2
	v_exp_f32_e32 v5, v5
	v_add_f32_e32 v2, 0x26f736c5, v2
	v_fma_f32 v4, v1, v2, -v4
	v_add_f32_e32 v4, 0xa8528116, v4
	v_fma_f32 v2, v1, v4, -v2
	;; [unrolled: 2-line block ×26, first 2 shown]
	v_ldexp_f32 v4, v5, v6
	v_add_f32_e32 v1, 0x3f2d4275, v1
	v_cndmask_b32_e32 v4, 0, v4, vcc_lo
	v_cmp_nlt_f32_e64 vcc_lo, 0x42b17218, |v3|
                                        ; implicit-def: $vgpr3
	v_sub_f32_e32 v1, v1, v2
	v_cndmask_b32_e32 v2, 0x7f800000, v4, vcc_lo
	v_mul_f32_e32 v1, 0.5, v1
	v_mul_f32_e32 v1, v2, v1
.LBB18_703:
	s_andn2_saveexec_b32 s22, s0
	s_cbranch_execz .LBB18_705
; %bb.704:
	v_and_b32_e32 v1, 0x7fffffff, v3
	s_mov_b32 s0, 0xa3056dbb
	v_div_scale_f32 v2, null, v1, v1, 0x42000000
	v_div_scale_f32 v1, vcc_lo, 0x42000000, v1, 0x42000000
	v_rcp_f32_e32 v4, v2
	v_fma_f32 v5, -v2, v4, 1.0
	v_fmac_f32_e32 v4, v5, v4
	v_mul_f32_e32 v5, v1, v4
	v_fma_f32 v6, -v2, v5, v1
	v_fmac_f32_e32 v5, v6, v4
	v_mul_f32_e64 v6, 0x3fb8aa3b, |v3|
	v_fma_f32 v1, -v2, v5, v1
	v_rndne_f32_e32 v7, v6
	v_fma_f32 v9, 0x3fb8aa3b, |v3|, -v6
	v_div_fmas_f32 v1, v1, v4, v5
	v_mul_f32_e64 v5, 0x4f800000, |v3|
	v_cmp_gt_f32_e64 vcc_lo, 0xf800000, |v3|
	v_sub_f32_e32 v6, v6, v7
	v_fma_f32 v9, 0x32a5705f, |v3|, v9
	v_div_fixup_f32 v1, v1, |v3|, 0x42000000
	v_cvt_i32_f32_e32 v7, v7
	v_cndmask_b32_e64 v5, |v3|, v5, vcc_lo
	v_add_f32_e32 v6, v6, v9
	v_add_f32_e32 v1, -2.0, v1
	v_sqrt_f32_e32 v10, v5
	v_exp_f32_e32 v6, v6
	v_fmaak_f32 v2, s0, v1, 0xa2b236d3
	v_fmaak_f32 v4, v1, v2, 0x23056dbb
	v_add_nc_u32_e32 v9, -1, v10
	v_add_nc_u32_e32 v11, 1, v10
	v_add_f32_e32 v4, 0x244df0c1, v4
	v_fma_f32 v12, -v9, v10, v5
	v_fma_f32 v13, -v11, v10, v5
	v_fma_f32 v2, v1, v4, -v2
	v_cmp_ge_f32_e64 s0, 0, v12
	v_add_f32_e32 v2, 0x241f9ee8, v2
	v_cndmask_b32_e64 v9, v10, v9, s0
	v_cmp_lt_f32_e64 s0, 0, v13
	v_fma_f32 v4, v1, v2, -v4
	v_add_f32_e32 v4, 0xa5a3005d, v4
	v_fma_f32 v2, v1, v4, -v2
	v_add_f32_e32 v2, 0xa5c5773f, v2
	;; [unrolled: 2-line block ×20, first 2 shown]
	v_fma_f32 v1, v1, v2, -v4
	v_ldexp_f32 v2, v6, v7
	v_cndmask_b32_e64 v6, v9, v11, s0
	v_cmp_ngt_f32_e64 s0, 0xc2ce8ed0, |v3|
	v_add_f32_e32 v1, 0x3f4df315, v1
	v_mul_f32_e32 v7, 0x37800000, v6
	v_cndmask_b32_e64 v2, 0, v2, s0
	v_cmp_nlt_f32_e64 s0, 0x42b17218, |v3|
	v_sub_f32_e32 v1, v1, v4
	v_cndmask_b32_e32 v3, v6, v7, vcc_lo
	v_cmp_class_f32_e64 vcc_lo, v5, 0x260
	v_cndmask_b32_e64 v2, 0x7f800000, v2, s0
	v_mul_f32_e32 v1, 0.5, v1
	v_cndmask_b32_e32 v3, v3, v5, vcc_lo
	v_mul_f32_e32 v1, v2, v1
	v_div_scale_f32 v2, null, v3, v3, v1
	v_rcp_f32_e32 v4, v2
	v_fma_f32 v5, -v2, v4, 1.0
	v_fmac_f32_e32 v4, v5, v4
	v_div_scale_f32 v5, vcc_lo, v1, v3, v1
	v_mul_f32_e32 v6, v5, v4
	v_fma_f32 v7, -v2, v6, v5
	v_fmac_f32_e32 v6, v7, v4
	v_fma_f32 v2, -v2, v6, v5
	v_div_fmas_f32 v2, v2, v4, v6
	v_div_fixup_f32 v1, v2, v3, v1
.LBB18_705:
	s_or_b32 exec_lo, exec_lo, s22
	v_add_co_u32 v3, s0, s8, v0
	v_add_co_ci_u32_e64 v4, null, s9, 0, s0
	s_and_b32 s22, s29, 0xff
	s_cmp_lt_i32 s22, 11
	s_cbranch_scc1 .LBB18_713
; %bb.706:
	s_and_b32 s23, 0xffff, s22
	s_cmp_gt_i32 s23, 25
	s_cbranch_scc0 .LBB18_714
; %bb.707:
	s_cmp_gt_i32 s23, 28
	s_cbranch_scc0 .LBB18_715
; %bb.708:
	;; [unrolled: 3-line block ×4, first 2 shown]
	s_mov_b32 s44, 0
	s_mov_b32 s0, -1
	s_cmp_eq_u32 s23, 46
	s_mov_b32 s43, 0
	s_cbranch_scc0 .LBB18_718
; %bb.711:
	v_bfe_u32 v0, v1, 16, 1
	v_cmp_o_f32_e32 vcc_lo, v1, v1
	v_mov_b32_e32 v2, 0x7fc0
	s_mov_b32 s43, -1
	s_mov_b32 s0, 0
	v_add3_u32 v0, v1, v0, 0x7fff
	v_cndmask_b32_sdwa v0, v2, v0, vcc_lo dst_sel:DWORD dst_unused:UNUSED_PAD src0_sel:DWORD src1_sel:WORD_1
	global_store_dword v[3:4], v0, off
	s_branch .LBB18_718
.LBB18_712:
	s_mov_b32 s43, 0
	s_mov_b32 s0, s40
	s_branch .LBB18_829
.LBB18_713:
	s_mov_b32 s23, -1
	s_mov_b32 s43, 0
	s_mov_b32 s0, s40
	s_branch .LBB18_787
.LBB18_714:
	s_mov_b32 s44, -1
	s_mov_b32 s43, 0
	s_mov_b32 s0, s40
	s_branch .LBB18_745
.LBB18_715:
	s_mov_b32 s44, -1
	s_mov_b32 s43, 0
	s_mov_b32 s0, s40
	s_branch .LBB18_728
.LBB18_716:
	s_mov_b32 s44, -1
	s_mov_b32 s43, 0
	s_mov_b32 s0, s40
	s_branch .LBB18_724
.LBB18_717:
	s_mov_b32 s44, -1
	s_mov_b32 s43, 0
	s_mov_b32 s0, s40
.LBB18_718:
	s_and_b32 vcc_lo, exec_lo, s44
	s_cbranch_vccz .LBB18_723
; %bb.719:
	s_cmp_eq_u32 s23, 44
	s_mov_b32 s0, -1
	s_cbranch_scc0 .LBB18_723
; %bb.720:
	v_bfe_u32 v2, v1, 23, 8
	v_mov_b32_e32 v0, 0xff
	s_mov_b32 s43, exec_lo
	v_cmpx_ne_u32_e32 0xff, v2
	s_cbranch_execz .LBB18_722
; %bb.721:
	v_and_b32_e32 v0, 0x400000, v1
	v_and_or_b32 v2, 0x3fffff, v1, v2
	v_cmp_ne_u32_e32 vcc_lo, 0, v0
	v_cmp_ne_u32_e64 s0, 0, v2
	v_lshrrev_b32_e32 v0, 23, v1
	s_and_b32 s0, vcc_lo, s0
	v_cndmask_b32_e64 v2, 0, 1, s0
	v_add_nc_u32_e32 v0, v0, v2
.LBB18_722:
	s_or_b32 exec_lo, exec_lo, s43
	s_mov_b32 s43, -1
	s_mov_b32 s0, 0
	global_store_byte v[3:4], v0, off
.LBB18_723:
	s_mov_b32 s44, 0
.LBB18_724:
	s_and_b32 vcc_lo, exec_lo, s44
	s_cbranch_vccz .LBB18_727
; %bb.725:
	s_cmp_eq_u32 s23, 29
	s_mov_b32 s0, -1
	s_cbranch_scc0 .LBB18_727
; %bb.726:
	v_trunc_f32_e32 v0, v1
	s_mov_b32 s43, -1
	s_mov_b32 s0, 0
	s_mov_b32 s44, 0
	v_mul_f32_e32 v2, 0x2f800000, v0
	v_floor_f32_e32 v2, v2
	v_fmamk_f32 v0, v2, 0xcf800000, v0
	v_cvt_u32_f32_e32 v6, v2
	v_cvt_u32_f32_e32 v5, v0
	global_store_dwordx2 v[3:4], v[5:6], off
	s_branch .LBB18_728
.LBB18_727:
	s_mov_b32 s44, 0
.LBB18_728:
	s_and_b32 vcc_lo, exec_lo, s44
	s_cbranch_vccz .LBB18_744
; %bb.729:
	s_cmp_lt_i32 s23, 27
	s_mov_b32 s43, -1
	s_cbranch_scc1 .LBB18_735
; %bb.730:
	v_cvt_u32_f32_e32 v0, v1
	s_cmp_gt_i32 s23, 27
	s_cbranch_scc0 .LBB18_732
; %bb.731:
	s_mov_b32 s43, 0
	global_store_dword v[3:4], v0, off
.LBB18_732:
	s_andn2_b32 vcc_lo, exec_lo, s43
	s_cbranch_vccnz .LBB18_734
; %bb.733:
	global_store_short v[3:4], v0, off
.LBB18_734:
	s_mov_b32 s43, 0
.LBB18_735:
	s_andn2_b32 vcc_lo, exec_lo, s43
	s_cbranch_vccnz .LBB18_743
; %bb.736:
	v_and_b32_e32 v0, 0x7fffffff, v1
	v_mov_b32_e32 v2, 0x80
	s_mov_b32 s43, exec_lo
	v_cmpx_gt_u32_e32 0x43800000, v0
	s_cbranch_execz .LBB18_742
; %bb.737:
	v_cmp_lt_u32_e32 vcc_lo, 0x3bffffff, v0
	s_mov_b32 s44, 0
                                        ; implicit-def: $vgpr0
	s_and_saveexec_b32 s45, vcc_lo
	s_xor_b32 s45, exec_lo, s45
	s_cbranch_execz .LBB18_859
; %bb.738:
	v_bfe_u32 v0, v1, 20, 1
	s_mov_b32 s44, exec_lo
	v_add3_u32 v0, v1, v0, 0x487ffff
	v_lshrrev_b32_e32 v0, 20, v0
	s_andn2_saveexec_b32 s45, s45
	s_cbranch_execnz .LBB18_860
.LBB18_739:
	s_or_b32 exec_lo, exec_lo, s45
	v_mov_b32_e32 v2, 0
	s_and_saveexec_b32 s45, s44
.LBB18_740:
	v_lshrrev_b32_e32 v2, 24, v1
	v_and_or_b32 v2, 0x80, v2, v0
.LBB18_741:
	s_or_b32 exec_lo, exec_lo, s45
.LBB18_742:
	s_or_b32 exec_lo, exec_lo, s43
	global_store_byte v[3:4], v2, off
.LBB18_743:
	s_mov_b32 s43, -1
.LBB18_744:
	s_mov_b32 s44, 0
.LBB18_745:
	s_and_b32 vcc_lo, exec_lo, s44
	s_cbranch_vccz .LBB18_786
; %bb.746:
	s_cmp_gt_i32 s23, 22
	s_mov_b32 s44, -1
	s_cbranch_scc0 .LBB18_778
; %bb.747:
	s_cmp_lt_i32 s23, 24
	s_mov_b32 s43, -1
	s_cbranch_scc1 .LBB18_767
; %bb.748:
	s_cmp_gt_i32 s23, 24
	s_cbranch_scc0 .LBB18_756
; %bb.749:
	v_and_b32_e32 v0, 0x7fffffff, v1
	v_mov_b32_e32 v2, 0x80
	s_mov_b32 s43, exec_lo
	v_cmpx_gt_u32_e32 0x47800000, v0
	s_cbranch_execz .LBB18_755
; %bb.750:
	v_cmp_lt_u32_e32 vcc_lo, 0x37ffffff, v0
	s_mov_b32 s44, 0
                                        ; implicit-def: $vgpr0
	s_and_saveexec_b32 s45, vcc_lo
	s_xor_b32 s45, exec_lo, s45
	s_cbranch_execz .LBB18_862
; %bb.751:
	v_bfe_u32 v0, v1, 21, 1
	s_mov_b32 s44, exec_lo
	v_add3_u32 v0, v1, v0, 0x88fffff
	v_lshrrev_b32_e32 v0, 21, v0
	s_andn2_saveexec_b32 s45, s45
	s_cbranch_execnz .LBB18_863
.LBB18_752:
	s_or_b32 exec_lo, exec_lo, s45
	v_mov_b32_e32 v2, 0
	s_and_saveexec_b32 s45, s44
.LBB18_753:
	v_lshrrev_b32_e32 v2, 24, v1
	v_and_or_b32 v2, 0x80, v2, v0
.LBB18_754:
	s_or_b32 exec_lo, exec_lo, s45
.LBB18_755:
	s_or_b32 exec_lo, exec_lo, s43
	s_mov_b32 s43, 0
	global_store_byte v[3:4], v2, off
.LBB18_756:
	s_and_b32 vcc_lo, exec_lo, s43
	s_cbranch_vccz .LBB18_766
; %bb.757:
	v_and_b32_e32 v2, 0x7fffffff, v1
	s_mov_b32 s43, exec_lo
                                        ; implicit-def: $vgpr0
	v_cmpx_gt_u32_e32 0x43f00000, v2
	s_xor_b32 s43, exec_lo, s43
	s_cbranch_execz .LBB18_763
; %bb.758:
	s_mov_b32 s44, exec_lo
                                        ; implicit-def: $vgpr0
	v_cmpx_lt_u32_e32 0x3c7fffff, v2
	s_xor_b32 s44, exec_lo, s44
; %bb.759:
	v_bfe_u32 v0, v1, 20, 1
	v_add3_u32 v0, v1, v0, 0x407ffff
	v_and_b32_e32 v2, 0xff00000, v0
	v_lshrrev_b32_e32 v0, 20, v0
	v_cmp_ne_u32_e32 vcc_lo, 0x7f00000, v2
	v_cndmask_b32_e32 v0, 0x7e, v0, vcc_lo
; %bb.760:
	s_andn2_saveexec_b32 s44, s44
; %bb.761:
	v_add_f32_e64 v0, 0x46800000, |v1|
; %bb.762:
	s_or_b32 exec_lo, exec_lo, s44
                                        ; implicit-def: $vgpr2
.LBB18_763:
	s_andn2_saveexec_b32 s43, s43
; %bb.764:
	v_mov_b32_e32 v0, 0x7f
	v_cmp_lt_u32_e32 vcc_lo, 0x7f800000, v2
	v_cndmask_b32_e32 v0, 0x7e, v0, vcc_lo
; %bb.765:
	s_or_b32 exec_lo, exec_lo, s43
	v_lshrrev_b32_e32 v2, 24, v1
	v_and_or_b32 v0, 0x80, v2, v0
	global_store_byte v[3:4], v0, off
.LBB18_766:
	s_mov_b32 s43, 0
.LBB18_767:
	s_andn2_b32 vcc_lo, exec_lo, s43
	s_cbranch_vccnz .LBB18_777
; %bb.768:
	v_and_b32_e32 v2, 0x7fffffff, v1
	s_mov_b32 s43, exec_lo
                                        ; implicit-def: $vgpr0
	v_cmpx_gt_u32_e32 0x47800000, v2
	s_xor_b32 s43, exec_lo, s43
	s_cbranch_execz .LBB18_774
; %bb.769:
	s_mov_b32 s44, exec_lo
                                        ; implicit-def: $vgpr0
	v_cmpx_lt_u32_e32 0x387fffff, v2
	s_xor_b32 s44, exec_lo, s44
; %bb.770:
	v_bfe_u32 v0, v1, 21, 1
	v_add3_u32 v0, v1, v0, 0x80fffff
	v_lshrrev_b32_e32 v0, 21, v0
; %bb.771:
	s_andn2_saveexec_b32 s44, s44
; %bb.772:
	v_add_f32_e64 v0, 0x43000000, |v1|
; %bb.773:
	s_or_b32 exec_lo, exec_lo, s44
                                        ; implicit-def: $vgpr2
.LBB18_774:
	s_andn2_saveexec_b32 s43, s43
; %bb.775:
	v_mov_b32_e32 v0, 0x7f
	v_cmp_lt_u32_e32 vcc_lo, 0x7f800000, v2
	v_cndmask_b32_e32 v0, 0x7c, v0, vcc_lo
; %bb.776:
	s_or_b32 exec_lo, exec_lo, s43
	v_lshrrev_b32_e32 v2, 24, v1
	v_and_or_b32 v0, 0x80, v2, v0
	global_store_byte v[3:4], v0, off
.LBB18_777:
	s_mov_b32 s44, 0
	s_mov_b32 s43, -1
.LBB18_778:
	s_andn2_b32 vcc_lo, exec_lo, s44
	s_cbranch_vccnz .LBB18_786
; %bb.779:
	s_cmp_gt_i32 s23, 14
	s_mov_b32 s44, -1
	s_cbranch_scc0 .LBB18_783
; %bb.780:
	s_cmp_eq_u32 s23, 15
	s_mov_b32 s0, -1
	s_cbranch_scc0 .LBB18_782
; %bb.781:
	v_bfe_u32 v0, v1, 16, 1
	v_cmp_o_f32_e32 vcc_lo, v1, v1
	v_mov_b32_e32 v2, 0x7fc0
	s_mov_b32 s43, -1
	s_mov_b32 s0, 0
	v_add3_u32 v0, v1, v0, 0x7fff
	v_cndmask_b32_sdwa v0, v2, v0, vcc_lo dst_sel:DWORD dst_unused:UNUSED_PAD src0_sel:DWORD src1_sel:WORD_1
	global_store_short v[3:4], v0, off
.LBB18_782:
	s_mov_b32 s44, 0
.LBB18_783:
	s_and_b32 vcc_lo, exec_lo, s44
	s_cbranch_vccz .LBB18_786
; %bb.784:
	s_cmp_eq_u32 s23, 11
	s_mov_b32 s0, -1
	s_cbranch_scc0 .LBB18_786
; %bb.785:
	v_cmp_neq_f32_e32 vcc_lo, 0, v1
	s_mov_b32 s0, 0
	s_mov_b32 s43, -1
	v_cndmask_b32_e64 v0, 0, 1, vcc_lo
	global_store_byte v[3:4], v0, off
.LBB18_786:
	s_mov_b32 s23, 0
.LBB18_787:
	s_and_b32 vcc_lo, exec_lo, s23
	s_cbranch_vccz .LBB18_826
; %bb.788:
	s_and_b32 s22, 0xffff, s22
	s_mov_b32 s23, -1
	s_cmp_lt_i32 s22, 5
	s_cbranch_scc1 .LBB18_809
; %bb.789:
	s_cmp_lt_i32 s22, 8
	s_cbranch_scc1 .LBB18_799
; %bb.790:
	;; [unrolled: 3-line block ×3, first 2 shown]
	s_cmp_gt_i32 s22, 9
	s_cbranch_scc0 .LBB18_793
; %bb.792:
	v_cvt_f64_f32_e32 v[9:10], v1
	v_mov_b32_e32 v11, 0
	s_mov_b32 s23, 0
	v_mov_b32_e32 v12, v11
	global_store_dwordx4 v[3:4], v[9:12], off
.LBB18_793:
	s_andn2_b32 vcc_lo, exec_lo, s23
	s_cbranch_vccnz .LBB18_795
; %bb.794:
	v_mov_b32_e32 v2, 0
	global_store_dwordx2 v[3:4], v[1:2], off
.LBB18_795:
	s_mov_b32 s23, 0
.LBB18_796:
	s_andn2_b32 vcc_lo, exec_lo, s23
	s_cbranch_vccnz .LBB18_798
; %bb.797:
	v_cvt_f16_f32_e32 v0, v1
	v_and_b32_e32 v0, 0xffff, v0
	global_store_dword v[3:4], v0, off
.LBB18_798:
	s_mov_b32 s23, 0
.LBB18_799:
	s_andn2_b32 vcc_lo, exec_lo, s23
	s_cbranch_vccnz .LBB18_808
; %bb.800:
	s_cmp_lt_i32 s22, 6
	s_mov_b32 s23, -1
	s_cbranch_scc1 .LBB18_806
; %bb.801:
	s_cmp_gt_i32 s22, 6
	s_cbranch_scc0 .LBB18_803
; %bb.802:
	v_cvt_f64_f32_e32 v[5:6], v1
	s_mov_b32 s23, 0
	global_store_dwordx2 v[3:4], v[5:6], off
.LBB18_803:
	s_andn2_b32 vcc_lo, exec_lo, s23
	s_cbranch_vccnz .LBB18_805
; %bb.804:
	global_store_dword v[3:4], v1, off
.LBB18_805:
	s_mov_b32 s23, 0
.LBB18_806:
	s_andn2_b32 vcc_lo, exec_lo, s23
	s_cbranch_vccnz .LBB18_808
; %bb.807:
	v_cvt_f16_f32_e32 v0, v1
	global_store_short v[3:4], v0, off
.LBB18_808:
	s_mov_b32 s23, 0
.LBB18_809:
	s_andn2_b32 vcc_lo, exec_lo, s23
	s_cbranch_vccnz .LBB18_825
; %bb.810:
	s_cmp_lt_i32 s22, 2
	s_mov_b32 s23, -1
	s_cbranch_scc1 .LBB18_820
; %bb.811:
	s_cmp_lt_i32 s22, 3
	s_cbranch_scc1 .LBB18_817
; %bb.812:
	s_cmp_gt_i32 s22, 3
	s_cbranch_scc0 .LBB18_814
; %bb.813:
	v_trunc_f32_e32 v0, v1
	s_mov_b32 s23, 0
	v_mul_f32_e64 v2, 0x2f800000, |v0|
	v_floor_f32_e32 v2, v2
	v_fma_f32 v5, 0xcf800000, v2, |v0|
	v_ashrrev_i32_e32 v0, 31, v0
	v_cvt_u32_f32_e32 v2, v2
	v_cvt_u32_f32_e32 v5, v5
	v_xor_b32_e32 v2, v2, v0
	v_xor_b32_e32 v5, v5, v0
	v_sub_co_u32 v5, vcc_lo, v5, v0
	v_sub_co_ci_u32_e64 v6, null, v2, v0, vcc_lo
	global_store_dwordx2 v[3:4], v[5:6], off
.LBB18_814:
	s_andn2_b32 vcc_lo, exec_lo, s23
	s_cbranch_vccnz .LBB18_816
; %bb.815:
	v_cvt_i32_f32_e32 v0, v1
	global_store_dword v[3:4], v0, off
.LBB18_816:
	s_mov_b32 s23, 0
.LBB18_817:
	s_andn2_b32 vcc_lo, exec_lo, s23
	s_cbranch_vccnz .LBB18_819
; %bb.818:
	v_cvt_i32_f32_e32 v0, v1
	global_store_short v[3:4], v0, off
.LBB18_819:
	s_mov_b32 s23, 0
.LBB18_820:
	s_andn2_b32 vcc_lo, exec_lo, s23
	s_cbranch_vccnz .LBB18_825
; %bb.821:
	s_cmp_gt_i32 s22, 0
	s_mov_b32 s22, -1
	s_cbranch_scc0 .LBB18_823
; %bb.822:
	v_cvt_i32_f32_e32 v0, v1
	s_mov_b32 s22, 0
	global_store_byte v[3:4], v0, off
.LBB18_823:
	s_andn2_b32 vcc_lo, exec_lo, s22
	s_cbranch_vccnz .LBB18_825
; %bb.824:
	v_trunc_f32_e32 v0, v1
	v_mul_f32_e64 v1, 0x2f800000, |v0|
	v_floor_f32_e32 v1, v1
	v_fma_f32 v1, 0xcf800000, v1, |v0|
	v_ashrrev_i32_e32 v0, 31, v0
	v_cvt_u32_f32_e32 v1, v1
	v_xor_b32_e32 v1, v1, v0
	v_sub_nc_u32_e32 v0, v1, v0
	global_store_byte v[3:4], v0, off
.LBB18_825:
	s_mov_b32 s43, -1
.LBB18_826:
	s_andn2_b32 vcc_lo, exec_lo, s43
	s_cbranch_vccnz .LBB18_828
; %bb.827:
	v_add_nc_u32_e32 v8, 0x80, v8
	s_mov_b32 s43, -1
	s_branch .LBB18_830
.LBB18_828:
	s_mov_b32 s43, 0
.LBB18_829:
                                        ; implicit-def: $vgpr8
.LBB18_830:
	s_andn2_b32 s22, s40, exec_lo
	s_and_b32 s0, s0, exec_lo
	s_andn2_b32 s44, s39, exec_lo
	s_and_b32 s1, s1, exec_lo
	s_or_b32 s23, s22, s0
	s_or_b32 s22, s44, s1
	s_orn2_b32 s44, s43, exec_lo
.LBB18_831:
	s_or_b32 exec_lo, exec_lo, s42
	s_mov_b32 s0, 0
	s_mov_b32 s1, 0
	;; [unrolled: 1-line block ×3, first 2 shown]
                                        ; implicit-def: $vgpr1_vgpr2
                                        ; implicit-def: $vgpr0
                                        ; implicit-def: $vgpr5
	s_and_saveexec_b32 s42, s44
	s_cbranch_execz .LBB18_931
; %bb.832:
	v_cmp_gt_i32_e32 vcc_lo, s33, v8
	s_mov_b32 s45, s22
	s_mov_b32 s44, 0
                                        ; implicit-def: $vgpr1_vgpr2
                                        ; implicit-def: $vgpr0
                                        ; implicit-def: $vgpr5
	s_and_saveexec_b32 s33, vcc_lo
	s_cbranch_execz .LBB18_930
; %bb.833:
	s_andn2_b32 vcc_lo, exec_lo, s27
	s_cbranch_vccnz .LBB18_838
; %bb.834:
	s_andn2_b32 vcc_lo, exec_lo, s34
	s_cbranch_vccnz .LBB18_839
; %bb.835:
	s_add_i32 s35, s35, 1
	s_cmp_eq_u32 s25, 2
	s_cbranch_scc1 .LBB18_840
; %bb.836:
	v_mov_b32_e32 v2, 0
	v_mov_b32_e32 v0, 0
	v_mov_b32_e32 v1, v8
	s_and_b32 s34, s35, 28
	s_mov_b64 s[0:1], s[2:3]
.LBB18_837:                             ; =>This Inner Loop Header: Depth=1
	s_clause 0x1
	s_load_dwordx8 s[44:51], s[0:1], 0x4
	s_load_dwordx4 s[60:63], s[0:1], 0x24
	s_load_dwordx8 s[52:59], s[20:21], 0x0
	s_add_u32 s0, s0, 48
	s_addc_u32 s1, s1, 0
	s_add_i32 s43, s43, 4
	s_add_u32 s20, s20, 32
	s_addc_u32 s21, s21, 0
	s_cmp_eq_u32 s34, s43
	s_waitcnt vmcnt(0) lgkmcnt(0)
	v_mul_hi_u32 v3, s45, v1
	v_add_nc_u32_e32 v3, v1, v3
	v_lshrrev_b32_e32 v3, s46, v3
	v_mul_hi_u32 v4, s48, v3
	v_mul_lo_u32 v6, v3, s44
	v_add_nc_u32_e32 v4, v3, v4
	v_sub_nc_u32_e32 v1, v1, v6
	v_lshrrev_b32_e32 v4, s49, v4
	v_mul_lo_u32 v6, v1, s52
	v_mul_lo_u32 v9, v1, s53
	v_mul_hi_u32 v5, s51, v4
	v_add_nc_u32_e32 v5, v4, v5
	v_lshrrev_b32_e32 v5, s60, v5
	v_mul_hi_u32 v7, s62, v5
	v_mul_lo_u32 v10, v5, s50
	v_add_nc_u32_e32 v1, v5, v7
	v_mul_lo_u32 v7, v4, s47
	v_sub_nc_u32_e32 v4, v4, v10
	v_lshrrev_b32_e32 v1, s63, v1
	v_mul_lo_u32 v10, v4, s56
	v_mul_lo_u32 v4, v4, s57
	v_sub_nc_u32_e32 v3, v3, v7
	v_mul_lo_u32 v11, v1, s61
	v_mul_lo_u32 v7, v3, s54
	;; [unrolled: 1-line block ×3, first 2 shown]
	v_sub_nc_u32_e32 v5, v5, v11
	v_add3_u32 v0, v6, v0, v7
	v_mul_lo_u32 v11, v5, s58
	v_mul_lo_u32 v5, v5, s59
	v_add3_u32 v2, v9, v2, v3
	v_add3_u32 v0, v10, v0, v11
	;; [unrolled: 1-line block ×3, first 2 shown]
	s_cbranch_scc0 .LBB18_837
	s_branch .LBB18_841
.LBB18_838:
	s_mov_b32 s0, -1
                                        ; implicit-def: $vgpr0
                                        ; implicit-def: $vgpr2
	s_branch .LBB18_845
.LBB18_839:
	v_mov_b32_e32 v0, 0
	v_mov_b32_e32 v2, 0
	s_branch .LBB18_844
.LBB18_840:
	v_mov_b32_e32 v0, 0
	v_mov_b32_e32 v2, 0
	;; [unrolled: 1-line block ×3, first 2 shown]
	s_mov_b32 s34, 0
.LBB18_841:
	s_and_b32 s35, s35, 3
	s_cmp_eq_u32 s35, 0
	s_cbranch_scc1 .LBB18_844
; %bb.842:
	s_lshl_b32 s0, s34, 3
	s_mul_i32 s20, s34, 12
	s_add_u32 s0, s2, s0
	s_addc_u32 s1, s3, 0
	s_add_u32 s0, s0, 0xc4
	s_addc_u32 s1, s1, 0
	;; [unrolled: 2-line block ×3, first 2 shown]
.LBB18_843:                             ; =>This Inner Loop Header: Depth=1
	s_clause 0x1
	s_load_dwordx2 s[44:45], s[20:21], 0x4
	s_load_dword s34, s[20:21], 0xc
	s_load_dwordx2 s[46:47], s[0:1], 0x0
	s_add_u32 s20, s20, 12
	s_addc_u32 s21, s21, 0
	s_add_u32 s0, s0, 8
	s_addc_u32 s1, s1, 0
	s_add_i32 s35, s35, -1
	s_cmp_lg_u32 s35, 0
	s_waitcnt vmcnt(0) lgkmcnt(0)
	v_mul_hi_u32 v3, s45, v1
	v_add_nc_u32_e32 v3, v1, v3
	v_lshrrev_b32_e32 v4, s34, v3
	v_mul_lo_u32 v3, v4, s44
	v_sub_nc_u32_e32 v3, v1, v3
	v_mad_u64_u32 v[0:1], null, v3, s46, v[0:1]
	v_mad_u64_u32 v[2:3], null, v3, s47, v[2:3]
	v_mov_b32_e32 v1, v4
	s_cbranch_scc1 .LBB18_843
.LBB18_844:
	s_mov_b32 s0, 0
.LBB18_845:
	s_andn2_b32 vcc_lo, exec_lo, s0
	s_cbranch_vccnz .LBB18_848
; %bb.846:
	s_waitcnt lgkmcnt(0)
	v_mul_hi_u32 v0, s17, v8
	s_andn2_b32 vcc_lo, exec_lo, s31
	v_add_nc_u32_e32 v0, v8, v0
	v_lshrrev_b32_e32 v1, s18, v0
	v_mul_lo_u32 v0, v1, s16
	v_sub_nc_u32_e32 v2, v8, v0
	v_mul_lo_u32 v0, v2, s12
	v_mul_lo_u32 v2, v2, s13
	s_cbranch_vccnz .LBB18_848
; %bb.847:
	s_waitcnt vmcnt(0)
	v_mul_hi_u32 v3, s6, v1
	v_add_nc_u32_e32 v3, v1, v3
	v_lshrrev_b32_e32 v3, s7, v3
	v_mul_lo_u32 v3, v3, s19
	v_sub_nc_u32_e32 v3, v1, v3
	v_mad_u64_u32 v[0:1], null, v3, s14, v[0:1]
	v_mad_u64_u32 v[2:3], null, v3, s15, v[2:3]
.LBB18_848:
	s_waitcnt lgkmcnt(0)
	v_add_co_u32 v1, s0, s10, v2
	v_add_co_ci_u32_e64 v2, null, s11, 0, s0
	s_and_b32 s0, 0xffff, s30
	s_cmp_lt_i32 s0, 11
	s_cbranch_scc1 .LBB18_855
; %bb.849:
	s_cmp_gt_i32 s0, 25
	s_mov_b32 s6, 0
	s_cbranch_scc0 .LBB18_856
; %bb.850:
	s_cmp_gt_i32 s0, 28
	s_cbranch_scc0 .LBB18_857
; %bb.851:
	s_cmp_gt_i32 s0, 43
	;; [unrolled: 3-line block ×3, first 2 shown]
	s_cbranch_scc0 .LBB18_861
; %bb.853:
	s_cmp_eq_u32 s0, 46
	s_mov_b32 s10, 0
	s_cbranch_scc0 .LBB18_864
; %bb.854:
	global_load_dword v3, v[1:2], off
	s_mov_b32 s1, 0
	s_mov_b32 s7, -1
	s_waitcnt vmcnt(0)
	v_lshlrev_b32_e32 v5, 16, v3
	s_branch .LBB18_866
.LBB18_855:
	s_mov_b32 s0, -1
	s_mov_b32 s7, 0
	s_mov_b32 s6, 0
	;; [unrolled: 1-line block ×3, first 2 shown]
                                        ; implicit-def: $vgpr5
	s_branch .LBB18_929
.LBB18_856:
	s_mov_b32 s10, -1
	s_mov_b32 s7, 0
	s_mov_b32 s1, s22
                                        ; implicit-def: $vgpr5
	s_branch .LBB18_895
.LBB18_857:
	s_mov_b32 s10, -1
	s_mov_b32 s7, 0
	s_mov_b32 s1, s22
                                        ; implicit-def: $vgpr5
	s_branch .LBB18_876
.LBB18_858:
	s_mov_b32 s10, -1
	s_mov_b32 s7, 0
	s_mov_b32 s1, s22
                                        ; implicit-def: $vgpr5
	s_branch .LBB18_871
.LBB18_859:
	s_andn2_saveexec_b32 s45, s45
	s_cbranch_execz .LBB18_739
.LBB18_860:
	v_add_f32_e64 v0, 0x46000000, |v1|
	s_andn2_b32 s44, s44, exec_lo
	v_and_b32_e32 v0, 0xff, v0
	v_cmp_ne_u32_e32 vcc_lo, 0, v0
	s_and_b32 s46, vcc_lo, exec_lo
	s_or_b32 s44, s44, s46
	s_or_b32 exec_lo, exec_lo, s45
	v_mov_b32_e32 v2, 0
	s_and_saveexec_b32 s45, s44
	s_cbranch_execnz .LBB18_740
	s_branch .LBB18_741
.LBB18_861:
	s_mov_b32 s10, -1
	s_mov_b32 s7, 0
	s_mov_b32 s1, s22
	s_branch .LBB18_865
.LBB18_862:
	s_andn2_saveexec_b32 s45, s45
	s_cbranch_execz .LBB18_752
.LBB18_863:
	v_add_f32_e64 v0, 0x42800000, |v1|
	s_andn2_b32 s44, s44, exec_lo
	v_and_b32_e32 v0, 0xff, v0
	v_cmp_ne_u32_e32 vcc_lo, 0, v0
	s_and_b32 s46, vcc_lo, exec_lo
	s_or_b32 s44, s44, s46
	s_or_b32 exec_lo, exec_lo, s45
	v_mov_b32_e32 v2, 0
	s_and_saveexec_b32 s45, s44
	s_cbranch_execnz .LBB18_753
	s_branch .LBB18_754
.LBB18_864:
	s_mov_b32 s1, -1
	s_mov_b32 s7, 0
.LBB18_865:
                                        ; implicit-def: $vgpr5
.LBB18_866:
	s_and_b32 vcc_lo, exec_lo, s10
	s_cbranch_vccz .LBB18_870
; %bb.867:
	s_cmp_eq_u32 s0, 44
	s_cbranch_scc0 .LBB18_869
; %bb.868:
	global_load_ubyte v3, v[1:2], off
	s_mov_b32 s1, 0
	s_mov_b32 s7, -1
	s_waitcnt vmcnt(0)
	v_lshlrev_b32_e32 v4, 23, v3
	v_cmp_ne_u32_e32 vcc_lo, 0xff, v3
	v_cndmask_b32_e32 v4, 0x7f800001, v4, vcc_lo
	v_cmp_ne_u32_e32 vcc_lo, 0, v3
	v_cndmask_b32_e32 v5, 0x400000, v4, vcc_lo
	s_branch .LBB18_870
.LBB18_869:
	s_mov_b32 s1, -1
                                        ; implicit-def: $vgpr5
.LBB18_870:
	s_mov_b32 s10, 0
.LBB18_871:
	s_and_b32 vcc_lo, exec_lo, s10
	s_cbranch_vccz .LBB18_875
; %bb.872:
	s_cmp_eq_u32 s0, 29
	s_cbranch_scc0 .LBB18_874
; %bb.873:
	global_load_dwordx2 v[3:4], v[1:2], off
	s_mov_b32 s1, 0
	s_mov_b32 s7, -1
	s_mov_b32 s10, 0
	s_waitcnt vmcnt(0)
	v_ffbh_u32_e32 v5, v4
	v_min_u32_e32 v5, 32, v5
	v_lshlrev_b64 v[3:4], v5, v[3:4]
	v_min_u32_e32 v3, 1, v3
	v_or_b32_e32 v3, v4, v3
	v_sub_nc_u32_e32 v4, 32, v5
	v_cvt_f32_u32_e32 v3, v3
	v_ldexp_f32 v5, v3, v4
	s_branch .LBB18_876
.LBB18_874:
	s_mov_b32 s1, -1
                                        ; implicit-def: $vgpr5
.LBB18_875:
	s_mov_b32 s10, 0
.LBB18_876:
	s_and_b32 vcc_lo, exec_lo, s10
	s_cbranch_vccz .LBB18_894
; %bb.877:
	s_cmp_lt_i32 s0, 27
	s_cbranch_scc1 .LBB18_880
; %bb.878:
	s_cmp_gt_i32 s0, 27
	s_cbranch_scc0 .LBB18_881
; %bb.879:
	global_load_dword v3, v[1:2], off
	s_mov_b32 s7, 0
	s_waitcnt vmcnt(0)
	v_cvt_f32_u32_e32 v5, v3
	s_branch .LBB18_882
.LBB18_880:
	s_mov_b32 s7, -1
                                        ; implicit-def: $vgpr5
	s_branch .LBB18_885
.LBB18_881:
	s_mov_b32 s7, -1
                                        ; implicit-def: $vgpr5
.LBB18_882:
	s_andn2_b32 vcc_lo, exec_lo, s7
	s_cbranch_vccnz .LBB18_884
; %bb.883:
	global_load_ushort v3, v[1:2], off
	s_waitcnt vmcnt(0)
	v_cvt_f32_u32_e32 v5, v3
.LBB18_884:
	s_mov_b32 s7, 0
.LBB18_885:
	s_andn2_b32 vcc_lo, exec_lo, s7
	s_cbranch_vccnz .LBB18_893
; %bb.886:
	global_load_ubyte v3, v[1:2], off
	s_mov_b32 s7, 0
	s_mov_b32 s10, exec_lo
	s_waitcnt vmcnt(0)
	v_cmpx_lt_i16_e32 0x7f, v3
	s_xor_b32 s10, exec_lo, s10
	s_cbranch_execz .LBB18_907
; %bb.887:
	s_mov_b32 s7, -1
	s_mov_b32 s11, exec_lo
	v_cmpx_eq_u16_e32 0x80, v3
; %bb.888:
	s_xor_b32 s7, exec_lo, -1
; %bb.889:
	s_or_b32 exec_lo, exec_lo, s11
	s_and_b32 s7, s7, exec_lo
	s_or_saveexec_b32 s10, s10
	v_mov_b32_e32 v5, 0x7f800001
	s_xor_b32 exec_lo, exec_lo, s10
	s_cbranch_execnz .LBB18_908
.LBB18_890:
	s_or_b32 exec_lo, exec_lo, s10
	s_and_saveexec_b32 s10, s7
	s_cbranch_execz .LBB18_892
.LBB18_891:
	v_and_b32_e32 v4, 0xffff, v3
	v_lshlrev_b32_e32 v3, 24, v3
	v_and_b32_e32 v5, 7, v4
	v_bfe_u32 v8, v4, 3, 4
	v_and_b32_e32 v3, 0x80000000, v3
	v_ffbh_u32_e32 v6, v5
	v_cmp_eq_u32_e32 vcc_lo, 0, v8
	v_min_u32_e32 v6, 32, v6
	v_subrev_nc_u32_e32 v7, 28, v6
	v_sub_nc_u32_e32 v6, 29, v6
	v_lshlrev_b32_e32 v4, v7, v4
	v_cndmask_b32_e32 v6, v8, v6, vcc_lo
	v_and_b32_e32 v4, 7, v4
	v_cndmask_b32_e32 v4, v5, v4, vcc_lo
	v_lshl_add_u32 v5, v6, 23, 0x3b800000
	v_lshlrev_b32_e32 v4, 20, v4
	v_or3_b32 v5, v3, v5, v4
.LBB18_892:
	s_or_b32 exec_lo, exec_lo, s10
.LBB18_893:
	s_mov_b32 s7, -1
.LBB18_894:
	s_mov_b32 s10, 0
.LBB18_895:
	s_and_b32 vcc_lo, exec_lo, s10
	s_cbranch_vccz .LBB18_928
; %bb.896:
	s_cmp_gt_i32 s0, 22
	s_cbranch_scc0 .LBB18_906
; %bb.897:
	s_cmp_lt_i32 s0, 24
	s_cbranch_scc1 .LBB18_909
; %bb.898:
	s_cmp_gt_i32 s0, 24
	s_cbranch_scc0 .LBB18_910
; %bb.899:
	global_load_ubyte v3, v[1:2], off
	s_mov_b32 s7, exec_lo
	s_waitcnt vmcnt(0)
	v_cmpx_lt_i16_e32 0x7f, v3
	s_xor_b32 s7, exec_lo, s7
	s_cbranch_execz .LBB18_922
; %bb.900:
	s_mov_b32 s6, -1
	s_mov_b32 s10, exec_lo
	v_cmpx_eq_u16_e32 0x80, v3
; %bb.901:
	s_xor_b32 s6, exec_lo, -1
; %bb.902:
	s_or_b32 exec_lo, exec_lo, s10
	s_and_b32 s6, s6, exec_lo
	s_or_saveexec_b32 s7, s7
	v_mov_b32_e32 v5, 0x7f800001
	s_xor_b32 exec_lo, exec_lo, s7
	s_cbranch_execnz .LBB18_923
.LBB18_903:
	s_or_b32 exec_lo, exec_lo, s7
	s_and_saveexec_b32 s7, s6
	s_cbranch_execz .LBB18_905
.LBB18_904:
	v_and_b32_e32 v4, 0xffff, v3
	v_lshlrev_b32_e32 v3, 24, v3
	v_and_b32_e32 v5, 3, v4
	v_bfe_u32 v8, v4, 2, 5
	v_and_b32_e32 v3, 0x80000000, v3
	v_ffbh_u32_e32 v6, v5
	v_cmp_eq_u32_e32 vcc_lo, 0, v8
	v_min_u32_e32 v6, 32, v6
	v_subrev_nc_u32_e32 v7, 29, v6
	v_sub_nc_u32_e32 v6, 30, v6
	v_lshlrev_b32_e32 v4, v7, v4
	v_cndmask_b32_e32 v6, v8, v6, vcc_lo
	v_and_b32_e32 v4, 3, v4
	v_cndmask_b32_e32 v4, v5, v4, vcc_lo
	v_lshl_add_u32 v5, v6, 23, 0x37800000
	v_lshlrev_b32_e32 v4, 21, v4
	v_or3_b32 v5, v3, v5, v4
.LBB18_905:
	s_or_b32 exec_lo, exec_lo, s7
	s_mov_b32 s6, 0
	s_branch .LBB18_911
.LBB18_906:
	s_mov_b32 s6, -1
                                        ; implicit-def: $vgpr5
	s_branch .LBB18_917
.LBB18_907:
	s_or_saveexec_b32 s10, s10
	v_mov_b32_e32 v5, 0x7f800001
	s_xor_b32 exec_lo, exec_lo, s10
	s_cbranch_execz .LBB18_890
.LBB18_908:
	v_cmp_ne_u16_e32 vcc_lo, 0, v3
	v_mov_b32_e32 v5, 0
	s_andn2_b32 s7, s7, exec_lo
	s_and_b32 s11, vcc_lo, exec_lo
	s_or_b32 s7, s7, s11
	s_or_b32 exec_lo, exec_lo, s10
	s_and_saveexec_b32 s10, s7
	s_cbranch_execnz .LBB18_891
	s_branch .LBB18_892
.LBB18_909:
	s_mov_b32 s6, -1
                                        ; implicit-def: $vgpr5
	s_branch .LBB18_914
.LBB18_910:
	s_mov_b32 s6, -1
                                        ; implicit-def: $vgpr5
.LBB18_911:
	s_and_b32 vcc_lo, exec_lo, s6
	s_cbranch_vccz .LBB18_913
; %bb.912:
	global_load_ubyte v3, v[1:2], off
	s_waitcnt vmcnt(0)
	v_lshlrev_b32_e32 v3, 24, v3
	v_and_b32_e32 v4, 0x7f000000, v3
	v_ffbh_u32_e32 v5, v4
	v_add_nc_u32_e32 v7, 0x1000000, v4
	v_cmp_ne_u32_e32 vcc_lo, 0, v4
	v_min_u32_e32 v5, 32, v5
	v_sub_nc_u32_e64 v5, v5, 4 clamp
	v_lshlrev_b32_e32 v6, v5, v4
	v_lshlrev_b32_e32 v5, 23, v5
	v_lshrrev_b32_e32 v6, 4, v6
	v_sub_nc_u32_e32 v5, v6, v5
	v_ashrrev_i32_e32 v6, 8, v7
	v_add_nc_u32_e32 v5, 0x3c000000, v5
	v_and_or_b32 v5, 0x7f800000, v6, v5
	v_cndmask_b32_e32 v4, 0, v5, vcc_lo
	v_and_or_b32 v5, 0x80000000, v3, v4
.LBB18_913:
	s_mov_b32 s6, 0
.LBB18_914:
	s_andn2_b32 vcc_lo, exec_lo, s6
	s_cbranch_vccnz .LBB18_916
; %bb.915:
	global_load_ubyte v3, v[1:2], off
	s_waitcnt vmcnt(0)
	v_lshlrev_b32_e32 v4, 25, v3
	v_lshlrev_b16 v3, 8, v3
	v_lshrrev_b32_e32 v5, 4, v4
	v_and_or_b32 v6, 0x7f00, v3, 0.5
	v_cmp_gt_u32_e32 vcc_lo, 0x8000000, v4
	v_bfe_i32 v3, v3, 0, 16
	v_or_b32_e32 v5, 0x70000000, v5
	v_add_f32_e32 v6, -0.5, v6
	v_mul_f32_e32 v5, 0x7800000, v5
	v_cndmask_b32_e32 v4, v5, v6, vcc_lo
	v_and_or_b32 v5, 0x80000000, v3, v4
.LBB18_916:
	s_mov_b32 s6, 0
	s_mov_b32 s7, -1
.LBB18_917:
	s_andn2_b32 vcc_lo, exec_lo, s6
	s_mov_b32 s6, 0
	s_cbranch_vccnz .LBB18_928
; %bb.918:
	s_cmp_gt_i32 s0, 14
	s_cbranch_scc0 .LBB18_921
; %bb.919:
	s_cmp_eq_u32 s0, 15
	s_cbranch_scc0 .LBB18_924
; %bb.920:
	global_load_ushort v3, v[1:2], off
	s_mov_b32 s1, 0
	s_mov_b32 s7, -1
	s_waitcnt vmcnt(0)
	v_lshlrev_b32_e32 v5, 16, v3
	s_branch .LBB18_926
.LBB18_921:
	s_mov_b32 s6, -1
	s_branch .LBB18_925
.LBB18_922:
	s_or_saveexec_b32 s7, s7
	v_mov_b32_e32 v5, 0x7f800001
	s_xor_b32 exec_lo, exec_lo, s7
	s_cbranch_execz .LBB18_903
.LBB18_923:
	v_cmp_ne_u16_e32 vcc_lo, 0, v3
	v_mov_b32_e32 v5, 0
	s_andn2_b32 s6, s6, exec_lo
	s_and_b32 s10, vcc_lo, exec_lo
	s_or_b32 s6, s6, s10
	s_or_b32 exec_lo, exec_lo, s7
	s_and_saveexec_b32 s7, s6
	s_cbranch_execnz .LBB18_904
	s_branch .LBB18_905
.LBB18_924:
	s_mov_b32 s1, -1
.LBB18_925:
                                        ; implicit-def: $vgpr5
.LBB18_926:
	s_and_b32 vcc_lo, exec_lo, s6
	s_mov_b32 s6, 0
	s_cbranch_vccz .LBB18_928
; %bb.927:
	s_cmp_lg_u32 s0, 11
	s_mov_b32 s6, -1
	s_cselect_b32 s0, -1, 0
	s_andn2_b32 s1, s1, exec_lo
	s_and_b32 s0, s0, exec_lo
	s_or_b32 s1, s1, s0
.LBB18_928:
	s_mov_b32 s0, 0
.LBB18_929:
	s_and_b32 s43, s7, exec_lo
	s_andn2_b32 s7, s22, exec_lo
	s_and_b32 s1, s1, exec_lo
	s_and_b32 s44, s0, exec_lo
	;; [unrolled: 1-line block ×3, first 2 shown]
	s_or_b32 s45, s7, s1
.LBB18_930:
	s_or_b32 exec_lo, exec_lo, s33
	s_waitcnt lgkmcnt(0)
	s_andn2_b32 s6, s22, exec_lo
	s_and_b32 s7, s45, exec_lo
	s_and_b32 s43, s43, exec_lo
	;; [unrolled: 1-line block ×4, first 2 shown]
	s_or_b32 s22, s6, s7
.LBB18_931:
	s_or_b32 exec_lo, exec_lo, s42
	s_waitcnt lgkmcnt(0)
	s_andn2_b32 s6, s40, exec_lo
	s_and_b32 s7, s23, exec_lo
	s_and_b32 s42, s43, exec_lo
	s_or_b32 s40, s6, s7
	s_andn2_b32 s6, s39, exec_lo
	s_and_b32 s7, s22, exec_lo
	s_and_b32 s23, s1, exec_lo
	;; [unrolled: 1-line block ×3, first 2 shown]
	s_or_b32 s39, s6, s7
.LBB18_932:
	s_or_b32 exec_lo, exec_lo, s41
	s_andn2_b32 s0, s36, exec_lo
	s_waitcnt lgkmcnt(0)
	s_and_b32 s6, s40, exec_lo
	s_and_b32 s7, s39, exec_lo
	s_or_b32 s36, s0, s6
	s_andn2_b32 s6, s37, exec_lo
	s_and_b32 s0, s42, exec_lo
	s_and_b32 s22, s23, exec_lo
	;; [unrolled: 1-line block ×3, first 2 shown]
	s_or_b32 s37, s6, s7
	s_or_b32 exec_lo, exec_lo, s38
	s_mov_b32 s1, 0
	s_and_saveexec_b32 s6, s37
	s_cbranch_execz .LBB18_278
.LBB18_933:
	s_mov_b32 s1, exec_lo
	s_andn2_b32 s39, s39, exec_lo
	s_trap 2
	s_or_b32 exec_lo, exec_lo, s6
	s_and_saveexec_b32 s6, s39
	s_xor_b32 s6, exec_lo, s6
	s_cbranch_execnz .LBB18_279
.LBB18_934:
	s_or_b32 exec_lo, exec_lo, s6
	s_and_saveexec_b32 s6, s22
	s_cbranch_execz .LBB18_980
.LBB18_935:
	s_sext_i32_i16 s7, s30
	s_cmp_lt_i32 s7, 5
	s_cbranch_scc1 .LBB18_940
; %bb.936:
	s_cmp_lt_i32 s7, 8
	s_cbranch_scc1 .LBB18_941
; %bb.937:
	;; [unrolled: 3-line block ×3, first 2 shown]
	s_cmp_gt_i32 s7, 9
	s_cbranch_scc0 .LBB18_943
; %bb.939:
	global_load_dwordx2 v[3:4], v[1:2], off
	s_mov_b32 s7, 0
	s_waitcnt vmcnt(0)
	v_cvt_f32_f64_e32 v5, v[3:4]
	s_branch .LBB18_944
.LBB18_940:
                                        ; implicit-def: $vgpr5
	s_branch .LBB18_961
.LBB18_941:
                                        ; implicit-def: $vgpr5
	s_branch .LBB18_950
.LBB18_942:
	s_mov_b32 s7, -1
                                        ; implicit-def: $vgpr5
	s_branch .LBB18_947
.LBB18_943:
	s_mov_b32 s7, -1
                                        ; implicit-def: $vgpr5
.LBB18_944:
	s_andn2_b32 vcc_lo, exec_lo, s7
	s_cbranch_vccnz .LBB18_946
; %bb.945:
	global_load_dword v5, v[1:2], off
.LBB18_946:
	s_mov_b32 s7, 0
.LBB18_947:
	s_andn2_b32 vcc_lo, exec_lo, s7
	s_cbranch_vccnz .LBB18_949
; %bb.948:
	global_load_dword v3, v[1:2], off
	s_waitcnt vmcnt(0)
	v_cvt_f32_f16_e32 v5, v3
.LBB18_949:
	s_cbranch_execnz .LBB18_960
.LBB18_950:
	s_sext_i32_i16 s7, s30
	s_cmp_lt_i32 s7, 6
	s_cbranch_scc1 .LBB18_953
; %bb.951:
	s_cmp_gt_i32 s7, 6
	s_cbranch_scc0 .LBB18_954
; %bb.952:
	global_load_dwordx2 v[3:4], v[1:2], off
	s_mov_b32 s7, 0
	s_waitcnt vmcnt(0)
	v_cvt_f32_f64_e32 v5, v[3:4]
	s_branch .LBB18_955
.LBB18_953:
	s_mov_b32 s7, -1
                                        ; implicit-def: $vgpr5
	s_branch .LBB18_958
.LBB18_954:
	s_mov_b32 s7, -1
                                        ; implicit-def: $vgpr5
.LBB18_955:
	s_andn2_b32 vcc_lo, exec_lo, s7
	s_cbranch_vccnz .LBB18_957
; %bb.956:
	global_load_dword v5, v[1:2], off
.LBB18_957:
	s_mov_b32 s7, 0
.LBB18_958:
	s_andn2_b32 vcc_lo, exec_lo, s7
	s_cbranch_vccnz .LBB18_960
; %bb.959:
	global_load_ushort v3, v[1:2], off
	s_waitcnt vmcnt(0)
	v_cvt_f32_f16_e32 v5, v3
.LBB18_960:
	s_cbranch_execnz .LBB18_979
.LBB18_961:
	s_sext_i32_i16 s7, s30
	s_cmp_lt_i32 s7, 2
	s_cbranch_scc1 .LBB18_965
; %bb.962:
	s_cmp_lt_i32 s7, 3
	s_cbranch_scc1 .LBB18_966
; %bb.963:
	s_cmp_gt_i32 s7, 3
	s_cbranch_scc0 .LBB18_967
; %bb.964:
	global_load_dwordx2 v[3:4], v[1:2], off
	s_mov_b32 s7, 0
	s_waitcnt vmcnt(0)
	v_xor_b32_e32 v5, v3, v4
	v_ffbh_i32_e32 v6, v4
	v_ashrrev_i32_e32 v5, 31, v5
	v_add_nc_u32_e32 v6, -1, v6
	v_add_nc_u32_e32 v5, 32, v5
	v_min_u32_e32 v5, v6, v5
	v_lshlrev_b64 v[3:4], v5, v[3:4]
	v_min_u32_e32 v3, 1, v3
	v_or_b32_e32 v3, v4, v3
	v_sub_nc_u32_e32 v4, 32, v5
	v_cvt_f32_i32_e32 v3, v3
	v_ldexp_f32 v5, v3, v4
	s_branch .LBB18_968
.LBB18_965:
                                        ; implicit-def: $vgpr5
	s_branch .LBB18_974
.LBB18_966:
	s_mov_b32 s7, -1
                                        ; implicit-def: $vgpr5
	s_branch .LBB18_971
.LBB18_967:
	s_mov_b32 s7, -1
                                        ; implicit-def: $vgpr5
.LBB18_968:
	s_andn2_b32 vcc_lo, exec_lo, s7
	s_cbranch_vccnz .LBB18_970
; %bb.969:
	global_load_dword v3, v[1:2], off
	s_waitcnt vmcnt(0)
	v_cvt_f32_i32_e32 v5, v3
.LBB18_970:
	s_mov_b32 s7, 0
.LBB18_971:
	s_andn2_b32 vcc_lo, exec_lo, s7
	s_cbranch_vccnz .LBB18_973
; %bb.972:
	global_load_sshort v3, v[1:2], off
	s_waitcnt vmcnt(0)
	v_cvt_f32_i32_e32 v5, v3
.LBB18_973:
	s_cbranch_execnz .LBB18_979
.LBB18_974:
	s_sext_i32_i16 s7, s30
	s_cmp_gt_i32 s7, 0
	s_mov_b32 s7, 0
	s_cbranch_scc0 .LBB18_976
; %bb.975:
	global_load_sbyte v3, v[1:2], off
	s_waitcnt vmcnt(0)
	v_cvt_f32_i32_e32 v5, v3
	s_branch .LBB18_977
.LBB18_976:
	s_mov_b32 s7, -1
                                        ; implicit-def: $vgpr5
.LBB18_977:
	s_andn2_b32 vcc_lo, exec_lo, s7
	s_cbranch_vccnz .LBB18_979
; %bb.978:
	global_load_ubyte v1, v[1:2], off
	s_waitcnt vmcnt(0)
	v_cvt_f32_ubyte0_e32 v5, v1
.LBB18_979:
	s_or_b32 s0, s0, exec_lo
.LBB18_980:
	s_or_b32 exec_lo, exec_lo, s6
	s_mov_b32 s11, 0
	s_mov_b32 s10, 0
                                        ; implicit-def: $sgpr6
                                        ; implicit-def: $vgpr3_vgpr4
                                        ; implicit-def: $vgpr1
	s_and_saveexec_b32 s7, s0
	s_cbranch_execz .LBB18_992
; %bb.981:
	s_waitcnt vmcnt(0)
	v_cmp_ge_f32_e64 s0, 0x41000000, |v5|
	v_mul_f32_e64 v2, 0x3fb8aa3b, |v5|
                                        ; implicit-def: $vgpr1
	s_and_saveexec_b32 s6, s0
	s_xor_b32 s0, exec_lo, s6
	s_cbranch_execz .LBB18_983
; %bb.982:
	v_fma_f32 v1, |v5|, 0.5, -2.0
	s_mov_b32 s6, 0xa2a2e5b9
	v_rndne_f32_e32 v6, v2
	v_fma_f32 v7, 0x3fb8aa3b, |v5|, -v2
	v_cmp_ngt_f32_e64 vcc_lo, 0xc2ce8ed0, |v5|
	v_fmaak_f32 v3, s6, v1, 0x24199b15
	v_sub_f32_e32 v2, v2, v6
	v_fma_f32 v7, 0x32a5705f, |v5|, v7
	v_cvt_i32_f32_e32 v6, v6
	v_fmaak_f32 v4, v1, v3, 0x22a2e5b9
	v_add_f32_e32 v2, v2, v7
	v_add_f32_e32 v4, 0xa58c275c, v4
	v_exp_f32_e32 v2, v2
	v_fma_f32 v3, v1, v4, -v3
	v_add_f32_e32 v3, 0x26f736c5, v3
	v_ldexp_f32 v2, v2, v6
	v_fma_f32 v4, v1, v3, -v4
	v_cndmask_b32_e32 v2, 0, v2, vcc_lo
	v_cmp_nlt_f32_e64 vcc_lo, 0x42b17218, |v5|
	v_add_f32_e32 v4, 0xa8528116, v4
                                        ; implicit-def: $vgpr5
	v_cndmask_b32_e32 v2, 0x7f800000, v2, vcc_lo
	v_fma_f32 v3, v1, v4, -v3
	v_add_f32_e32 v3, 0x29acda32, v3
	v_fma_f32 v4, v1, v3, -v4
	v_add_f32_e32 v4, 0xab08b263, v4
	;; [unrolled: 2-line block ×25, first 2 shown]
	v_sub_f32_e32 v1, v1, v3
	v_mul_f32_e32 v1, 0.5, v1
	v_mul_f32_e32 v1, v2, v1
                                        ; implicit-def: $vgpr2
.LBB18_983:
	s_andn2_saveexec_b32 s6, s0
	s_cbranch_execz .LBB18_985
; %bb.984:
	v_and_b32_e32 v1, 0x7fffffff, v5
	s_mov_b32 s0, 0xa3056dbb
	v_fma_f32 v8, 0x3fb8aa3b, |v5|, -v2
	v_div_scale_f32 v3, null, v1, v1, 0x42000000
	v_div_scale_f32 v1, vcc_lo, 0x42000000, v1, 0x42000000
	v_fma_f32 v8, 0x32a5705f, |v5|, v8
	v_rcp_f32_e32 v4, v3
	v_fma_f32 v6, -v3, v4, 1.0
	v_fmac_f32_e32 v4, v6, v4
	v_mul_f32_e32 v6, v1, v4
	v_fma_f32 v7, -v3, v6, v1
	v_fmac_f32_e32 v6, v7, v4
	v_rndne_f32_e32 v7, v2
	v_fma_f32 v1, -v3, v6, v1
	v_sub_f32_e32 v2, v2, v7
	v_cvt_i32_f32_e32 v7, v7
	v_div_fmas_f32 v1, v1, v4, v6
	v_mul_f32_e64 v6, 0x4f800000, |v5|
	v_cmp_gt_f32_e64 vcc_lo, 0xf800000, |v5|
	v_add_f32_e32 v2, v2, v8
	v_div_fixup_f32 v1, v1, |v5|, 0x42000000
	v_cndmask_b32_e64 v6, |v5|, v6, vcc_lo
	v_exp_f32_e32 v2, v2
	v_add_f32_e32 v1, -2.0, v1
	v_sqrt_f32_e32 v9, v6
	v_fmaak_f32 v3, s0, v1, 0xa2b236d3
	v_ldexp_f32 v2, v2, v7
	v_fmaak_f32 v4, v1, v3, 0x23056dbb
	v_add_nc_u32_e32 v8, -1, v9
	v_add_nc_u32_e32 v10, 1, v9
	v_add_f32_e32 v4, 0x244df0c1, v4
	v_fma_f32 v11, -v8, v9, v6
	v_fma_f32 v12, -v10, v9, v6
	v_fma_f32 v3, v1, v4, -v3
	v_cmp_ge_f32_e64 s0, 0, v11
	v_add_f32_e32 v3, 0x241f9ee8, v3
	v_cndmask_b32_e64 v8, v9, v8, s0
	v_cmp_lt_f32_e64 s0, 0, v12
	v_fma_f32 v4, v1, v3, -v4
	v_add_f32_e32 v4, 0xa5a3005d, v4
	v_fma_f32 v3, v1, v4, -v3
	v_add_f32_e32 v3, 0xa5c5773f, v3
	;; [unrolled: 2-line block ×20, first 2 shown]
	v_fma_f32 v1, v1, v3, -v4
	v_cndmask_b32_e64 v3, v8, v10, s0
	v_cmp_ngt_f32_e64 s0, 0xc2ce8ed0, |v5|
	v_add_f32_e32 v1, 0x3f4df315, v1
	v_mul_f32_e32 v7, 0x37800000, v3
	v_cndmask_b32_e64 v2, 0, v2, s0
	v_cmp_nlt_f32_e64 s0, 0x42b17218, |v5|
	v_sub_f32_e32 v1, v1, v4
	v_cndmask_b32_e32 v3, v3, v7, vcc_lo
	v_cmp_class_f32_e64 vcc_lo, v6, 0x260
	v_cndmask_b32_e64 v2, 0x7f800000, v2, s0
	v_mul_f32_e32 v1, 0.5, v1
	v_cndmask_b32_e32 v3, v3, v6, vcc_lo
	v_mul_f32_e32 v1, v2, v1
	v_div_scale_f32 v2, null, v3, v3, v1
	v_rcp_f32_e32 v4, v2
	v_fma_f32 v5, -v2, v4, 1.0
	v_fmac_f32_e32 v4, v5, v4
	v_div_scale_f32 v5, vcc_lo, v1, v3, v1
	v_mul_f32_e32 v6, v5, v4
	v_fma_f32 v7, -v2, v6, v5
	v_fmac_f32_e32 v6, v7, v4
	v_fma_f32 v2, -v2, v6, v5
	v_div_fmas_f32 v2, v2, v4, v6
	v_div_fixup_f32 v1, v2, v3, v1
.LBB18_985:
	s_or_b32 exec_lo, exec_lo, s6
	v_add_co_u32 v3, s0, s8, v0
	v_add_co_ci_u32_e64 v4, null, s9, 0, s0
	s_and_b32 s6, s29, 0xff
	s_cmp_lt_i32 s6, 11
	s_cbranch_scc1 .LBB18_995
; %bb.986:
	s_and_b32 s8, 0xffff, s6
	s_mov_b32 s9, -1
	s_cmp_gt_i32 s8, 25
	s_mov_b32 s0, s36
	s_cbranch_scc0 .LBB18_1023
; %bb.987:
	s_cmp_gt_i32 s8, 28
	s_mov_b32 s0, s36
	s_cbranch_scc0 .LBB18_1007
; %bb.988:
	;; [unrolled: 4-line block ×4, first 2 shown]
	s_cmp_eq_u32 s8, 46
	s_mov_b32 s0, -1
	s_cbranch_scc0 .LBB18_996
; %bb.991:
	v_bfe_u32 v0, v1, 16, 1
	v_cmp_o_f32_e32 vcc_lo, v1, v1
	v_mov_b32_e32 v2, 0x7fc0
	s_mov_b32 s0, 0
	s_mov_b32 s9, 0
	v_add3_u32 v0, v1, v0, 0x7fff
	v_cndmask_b32_sdwa v0, v2, v0, vcc_lo dst_sel:DWORD dst_unused:UNUSED_PAD src0_sel:DWORD src1_sel:WORD_1
	global_store_dword v[3:4], v0, off
	s_branch .LBB18_997
.LBB18_992:
	s_or_b32 exec_lo, exec_lo, s7
	s_and_saveexec_b32 s0, s36
	s_cbranch_execnz .LBB18_1065
.LBB18_993:
	s_or_b32 exec_lo, exec_lo, s0
	s_and_saveexec_b32 s0, s11
	s_xor_b32 s0, exec_lo, s0
	s_cbranch_execz .LBB18_1066
.LBB18_994:
	v_cmp_neq_f32_e32 vcc_lo, 0, v1
	v_cndmask_b32_e64 v0, 0, 1, vcc_lo
	s_waitcnt vmcnt(0)
	global_store_byte v[3:4], v0, off
	s_or_b32 exec_lo, exec_lo, s0
	s_and_saveexec_b32 s0, s10
	s_xor_b32 s0, exec_lo, s0
	s_cbranch_execz .LBB18_1104
	s_branch .LBB18_1067
.LBB18_995:
	s_mov_b32 s9, -1
	s_mov_b32 s0, s36
	s_branch .LBB18_1064
.LBB18_996:
	s_mov_b32 s9, 0
.LBB18_997:
	s_and_b32 vcc_lo, exec_lo, s9
	s_cbranch_vccz .LBB18_1002
; %bb.998:
	s_cmp_eq_u32 s8, 44
	s_mov_b32 s0, -1
	s_cbranch_scc0 .LBB18_1002
; %bb.999:
	v_bfe_u32 v2, v1, 23, 8
	v_mov_b32_e32 v0, 0xff
	s_mov_b32 s9, exec_lo
	v_cmpx_ne_u32_e32 0xff, v2
	s_cbranch_execz .LBB18_1001
; %bb.1000:
	v_and_b32_e32 v0, 0x400000, v1
	v_and_or_b32 v2, 0x3fffff, v1, v2
	v_cmp_ne_u32_e32 vcc_lo, 0, v0
	v_cmp_ne_u32_e64 s0, 0, v2
	v_lshrrev_b32_e32 v0, 23, v1
	s_and_b32 s0, vcc_lo, s0
	v_cndmask_b32_e64 v2, 0, 1, s0
	v_add_nc_u32_e32 v0, v0, v2
.LBB18_1001:
	s_or_b32 exec_lo, exec_lo, s9
	s_mov_b32 s0, 0
	global_store_byte v[3:4], v0, off
.LBB18_1002:
	s_mov_b32 s9, 0
.LBB18_1003:
	s_and_b32 vcc_lo, exec_lo, s9
	s_cbranch_vccz .LBB18_1006
; %bb.1004:
	s_cmp_eq_u32 s8, 29
	s_mov_b32 s0, -1
	s_cbranch_scc0 .LBB18_1006
; %bb.1005:
	v_trunc_f32_e32 v0, v1
	s_mov_b32 s0, 0
	s_mov_b32 s9, 0
	v_mul_f32_e32 v2, 0x2f800000, v0
	v_floor_f32_e32 v2, v2
	v_fmamk_f32 v0, v2, 0xcf800000, v0
	v_cvt_u32_f32_e32 v6, v2
	v_cvt_u32_f32_e32 v5, v0
	global_store_dwordx2 v[3:4], v[5:6], off
	s_branch .LBB18_1007
.LBB18_1006:
	s_mov_b32 s9, 0
.LBB18_1007:
	s_and_b32 vcc_lo, exec_lo, s9
	s_cbranch_vccz .LBB18_1022
; %bb.1008:
	s_cmp_lt_i32 s8, 27
	s_mov_b32 s9, -1
	s_cbranch_scc1 .LBB18_1014
; %bb.1009:
	s_cmp_gt_i32 s8, 27
	s_cbranch_scc0 .LBB18_1011
; %bb.1010:
	v_cvt_u32_f32_e32 v0, v1
	s_mov_b32 s9, 0
	global_store_dword v[3:4], v0, off
.LBB18_1011:
	s_andn2_b32 vcc_lo, exec_lo, s9
	s_cbranch_vccnz .LBB18_1013
; %bb.1012:
	v_cvt_u32_f32_e32 v0, v1
	global_store_short v[3:4], v0, off
.LBB18_1013:
	s_mov_b32 s9, 0
.LBB18_1014:
	s_andn2_b32 vcc_lo, exec_lo, s9
	s_cbranch_vccnz .LBB18_1022
; %bb.1015:
	v_and_b32_e32 v0, 0x7fffffff, v1
	v_mov_b32_e32 v2, 0x80
	s_mov_b32 s9, exec_lo
	v_cmpx_gt_u32_e32 0x43800000, v0
	s_cbranch_execz .LBB18_1021
; %bb.1016:
	v_cmp_lt_u32_e32 vcc_lo, 0x3bffffff, v0
                                        ; implicit-def: $vgpr0
	s_and_saveexec_b32 s11, vcc_lo
	s_xor_b32 s11, exec_lo, s11
	s_cbranch_execz .LBB18_1175
; %bb.1017:
	v_bfe_u32 v0, v1, 20, 1
	s_mov_b32 s10, exec_lo
	v_add3_u32 v0, v1, v0, 0x487ffff
	v_lshrrev_b32_e32 v0, 20, v0
	s_andn2_saveexec_b32 s11, s11
	s_cbranch_execnz .LBB18_1176
.LBB18_1018:
	s_or_b32 exec_lo, exec_lo, s11
	v_mov_b32_e32 v2, 0
	s_and_saveexec_b32 s11, s10
.LBB18_1019:
	v_lshrrev_b32_e32 v2, 24, v1
	v_and_or_b32 v2, 0x80, v2, v0
.LBB18_1020:
	s_or_b32 exec_lo, exec_lo, s11
.LBB18_1021:
	s_or_b32 exec_lo, exec_lo, s9
	global_store_byte v[3:4], v2, off
.LBB18_1022:
	s_mov_b32 s9, 0
.LBB18_1023:
	s_and_b32 vcc_lo, exec_lo, s9
	s_mov_b32 s9, 0
	s_cbranch_vccz .LBB18_1063
; %bb.1024:
	s_cmp_gt_i32 s8, 22
	s_mov_b32 s10, -1
	s_cbranch_scc0 .LBB18_1056
; %bb.1025:
	s_cmp_lt_i32 s8, 24
	s_cbranch_scc1 .LBB18_1045
; %bb.1026:
	s_cmp_gt_i32 s8, 24
	s_cbranch_scc0 .LBB18_1034
; %bb.1027:
	v_and_b32_e32 v0, 0x7fffffff, v1
	v_mov_b32_e32 v2, 0x80
	s_mov_b32 s10, exec_lo
	v_cmpx_gt_u32_e32 0x47800000, v0
	s_cbranch_execz .LBB18_1033
; %bb.1028:
	v_cmp_lt_u32_e32 vcc_lo, 0x37ffffff, v0
	s_mov_b32 s11, 0
                                        ; implicit-def: $vgpr0
	s_and_saveexec_b32 s12, vcc_lo
	s_xor_b32 s12, exec_lo, s12
	s_cbranch_execz .LBB18_1305
; %bb.1029:
	v_bfe_u32 v0, v1, 21, 1
	s_mov_b32 s11, exec_lo
	v_add3_u32 v0, v1, v0, 0x88fffff
	v_lshrrev_b32_e32 v0, 21, v0
	s_andn2_saveexec_b32 s12, s12
	s_cbranch_execnz .LBB18_1306
.LBB18_1030:
	s_or_b32 exec_lo, exec_lo, s12
	v_mov_b32_e32 v2, 0
	s_and_saveexec_b32 s12, s11
.LBB18_1031:
	v_lshrrev_b32_e32 v2, 24, v1
	v_and_or_b32 v2, 0x80, v2, v0
.LBB18_1032:
	s_or_b32 exec_lo, exec_lo, s12
.LBB18_1033:
	s_or_b32 exec_lo, exec_lo, s10
	s_mov_b32 s10, 0
	global_store_byte v[3:4], v2, off
.LBB18_1034:
	s_and_b32 vcc_lo, exec_lo, s10
	s_cbranch_vccz .LBB18_1044
; %bb.1035:
	v_and_b32_e32 v2, 0x7fffffff, v1
	s_mov_b32 s10, exec_lo
                                        ; implicit-def: $vgpr0
	v_cmpx_gt_u32_e32 0x43f00000, v2
	s_xor_b32 s10, exec_lo, s10
	s_cbranch_execz .LBB18_1041
; %bb.1036:
	s_mov_b32 s11, exec_lo
                                        ; implicit-def: $vgpr0
	v_cmpx_lt_u32_e32 0x3c7fffff, v2
	s_xor_b32 s11, exec_lo, s11
; %bb.1037:
	v_bfe_u32 v0, v1, 20, 1
	v_add3_u32 v0, v1, v0, 0x407ffff
	v_and_b32_e32 v2, 0xff00000, v0
	v_lshrrev_b32_e32 v0, 20, v0
	v_cmp_ne_u32_e32 vcc_lo, 0x7f00000, v2
	v_cndmask_b32_e32 v0, 0x7e, v0, vcc_lo
; %bb.1038:
	s_andn2_saveexec_b32 s11, s11
; %bb.1039:
	v_add_f32_e64 v0, 0x46800000, |v1|
; %bb.1040:
	s_or_b32 exec_lo, exec_lo, s11
                                        ; implicit-def: $vgpr2
.LBB18_1041:
	s_andn2_saveexec_b32 s10, s10
; %bb.1042:
	v_mov_b32_e32 v0, 0x7f
	v_cmp_lt_u32_e32 vcc_lo, 0x7f800000, v2
	v_cndmask_b32_e32 v0, 0x7e, v0, vcc_lo
; %bb.1043:
	s_or_b32 exec_lo, exec_lo, s10
	v_lshrrev_b32_e32 v2, 24, v1
	v_and_or_b32 v0, 0x80, v2, v0
	global_store_byte v[3:4], v0, off
.LBB18_1044:
	s_mov_b32 s10, 0
.LBB18_1045:
	s_andn2_b32 vcc_lo, exec_lo, s10
	s_cbranch_vccnz .LBB18_1055
; %bb.1046:
	v_and_b32_e32 v2, 0x7fffffff, v1
	s_mov_b32 s10, exec_lo
                                        ; implicit-def: $vgpr0
	v_cmpx_gt_u32_e32 0x47800000, v2
	s_xor_b32 s10, exec_lo, s10
	s_cbranch_execz .LBB18_1052
; %bb.1047:
	s_mov_b32 s11, exec_lo
                                        ; implicit-def: $vgpr0
	v_cmpx_lt_u32_e32 0x387fffff, v2
	s_xor_b32 s11, exec_lo, s11
; %bb.1048:
	v_bfe_u32 v0, v1, 21, 1
	v_add3_u32 v0, v1, v0, 0x80fffff
	v_lshrrev_b32_e32 v0, 21, v0
; %bb.1049:
	s_andn2_saveexec_b32 s11, s11
; %bb.1050:
	v_add_f32_e64 v0, 0x43000000, |v1|
; %bb.1051:
	s_or_b32 exec_lo, exec_lo, s11
                                        ; implicit-def: $vgpr2
.LBB18_1052:
	s_andn2_saveexec_b32 s10, s10
; %bb.1053:
	v_mov_b32_e32 v0, 0x7f
	v_cmp_lt_u32_e32 vcc_lo, 0x7f800000, v2
	v_cndmask_b32_e32 v0, 0x7c, v0, vcc_lo
; %bb.1054:
	s_or_b32 exec_lo, exec_lo, s10
	v_lshrrev_b32_e32 v2, 24, v1
	v_and_or_b32 v0, 0x80, v2, v0
	global_store_byte v[3:4], v0, off
.LBB18_1055:
	s_mov_b32 s10, 0
.LBB18_1056:
	s_andn2_b32 vcc_lo, exec_lo, s10
	s_mov_b32 s11, 0
	s_cbranch_vccnz .LBB18_1064
; %bb.1057:
	s_cmp_gt_i32 s8, 14
	s_mov_b32 s10, -1
	s_cbranch_scc0 .LBB18_1061
; %bb.1058:
	s_cmp_eq_u32 s8, 15
	s_mov_b32 s0, -1
	s_cbranch_scc0 .LBB18_1060
; %bb.1059:
	v_bfe_u32 v0, v1, 16, 1
	v_cmp_o_f32_e32 vcc_lo, v1, v1
	v_mov_b32_e32 v2, 0x7fc0
	s_mov_b32 s0, 0
	v_add3_u32 v0, v1, v0, 0x7fff
	v_cndmask_b32_sdwa v0, v2, v0, vcc_lo dst_sel:DWORD dst_unused:UNUSED_PAD src0_sel:DWORD src1_sel:WORD_1
	global_store_short v[3:4], v0, off
.LBB18_1060:
	s_mov_b32 s10, 0
.LBB18_1061:
	s_and_b32 vcc_lo, exec_lo, s10
	s_cbranch_vccz .LBB18_1064
; %bb.1062:
	s_cmp_lg_u32 s8, 11
	s_mov_b32 s11, -1
	s_cselect_b32 s8, -1, 0
	s_andn2_b32 s0, s0, exec_lo
	s_and_b32 s8, s8, exec_lo
	s_or_b32 s0, s0, s8
	s_branch .LBB18_1064
.LBB18_1063:
	s_mov_b32 s11, 0
.LBB18_1064:
	s_andn2_b32 s8, s36, exec_lo
	s_and_b32 s0, s0, exec_lo
	s_and_b32 s10, s9, exec_lo
	s_and_b32 s11, s11, exec_lo
	s_or_b32 s36, s8, s0
	s_or_b32 exec_lo, exec_lo, s7
	s_and_saveexec_b32 s0, s36
	s_cbranch_execz .LBB18_993
.LBB18_1065:
	s_or_b32 s1, s1, exec_lo
	s_andn2_b32 s11, s11, exec_lo
	s_trap 2
	s_or_b32 exec_lo, exec_lo, s0
	s_and_saveexec_b32 s0, s11
	s_xor_b32 s0, exec_lo, s0
	s_cbranch_execnz .LBB18_994
.LBB18_1066:
	s_or_b32 exec_lo, exec_lo, s0
	s_and_saveexec_b32 s0, s10
	s_xor_b32 s0, exec_lo, s0
	s_cbranch_execz .LBB18_1104
.LBB18_1067:
	s_sext_i32_i16 s8, s6
	s_mov_b32 s7, -1
	s_cmp_lt_i32 s8, 5
	s_cbranch_scc1 .LBB18_1088
; %bb.1068:
	s_cmp_lt_i32 s8, 8
	s_cbranch_scc1 .LBB18_1078
; %bb.1069:
	s_cmp_lt_i32 s8, 9
	s_cbranch_scc1 .LBB18_1075
; %bb.1070:
	s_cmp_gt_i32 s8, 9
	s_cbranch_scc0 .LBB18_1072
; %bb.1071:
	s_waitcnt vmcnt(0)
	v_cvt_f64_f32_e32 v[5:6], v1
	v_mov_b32_e32 v7, 0
	s_mov_b32 s7, 0
	v_mov_b32_e32 v8, v7
	global_store_dwordx4 v[3:4], v[5:8], off
.LBB18_1072:
	s_andn2_b32 vcc_lo, exec_lo, s7
	s_cbranch_vccnz .LBB18_1074
; %bb.1073:
	v_mov_b32_e32 v2, 0
	s_waitcnt vmcnt(0)
	global_store_dwordx2 v[3:4], v[1:2], off
.LBB18_1074:
	s_mov_b32 s7, 0
.LBB18_1075:
	s_andn2_b32 vcc_lo, exec_lo, s7
	s_cbranch_vccnz .LBB18_1077
; %bb.1076:
	v_cvt_f16_f32_e32 v0, v1
	v_and_b32_e32 v0, 0xffff, v0
	s_waitcnt vmcnt(0)
	global_store_dword v[3:4], v0, off
.LBB18_1077:
	s_mov_b32 s7, 0
.LBB18_1078:
	s_andn2_b32 vcc_lo, exec_lo, s7
	s_cbranch_vccnz .LBB18_1087
; %bb.1079:
	s_sext_i32_i16 s8, s6
	s_mov_b32 s7, -1
	s_cmp_lt_i32 s8, 6
	s_cbranch_scc1 .LBB18_1085
; %bb.1080:
	s_cmp_gt_i32 s8, 6
	s_cbranch_scc0 .LBB18_1082
; %bb.1081:
	s_waitcnt vmcnt(0)
	v_cvt_f64_f32_e32 v[5:6], v1
	s_mov_b32 s7, 0
	global_store_dwordx2 v[3:4], v[5:6], off
.LBB18_1082:
	s_andn2_b32 vcc_lo, exec_lo, s7
	s_cbranch_vccnz .LBB18_1084
; %bb.1083:
	s_waitcnt vmcnt(0)
	global_store_dword v[3:4], v1, off
.LBB18_1084:
	s_mov_b32 s7, 0
.LBB18_1085:
	s_andn2_b32 vcc_lo, exec_lo, s7
	s_cbranch_vccnz .LBB18_1087
; %bb.1086:
	v_cvt_f16_f32_e32 v0, v1
	s_waitcnt vmcnt(0)
	global_store_short v[3:4], v0, off
.LBB18_1087:
	s_mov_b32 s7, 0
.LBB18_1088:
	s_andn2_b32 vcc_lo, exec_lo, s7
	s_cbranch_vccnz .LBB18_1104
; %bb.1089:
	s_sext_i32_i16 s8, s6
	s_mov_b32 s7, -1
	s_cmp_lt_i32 s8, 2
	s_cbranch_scc1 .LBB18_1099
; %bb.1090:
	s_cmp_lt_i32 s8, 3
	s_cbranch_scc1 .LBB18_1096
; %bb.1091:
	s_cmp_gt_i32 s8, 3
	s_cbranch_scc0 .LBB18_1093
; %bb.1092:
	v_trunc_f32_e32 v0, v1
	s_mov_b32 s7, 0
	v_mul_f32_e64 v2, 0x2f800000, |v0|
	v_floor_f32_e32 v2, v2
	s_waitcnt vmcnt(0)
	v_fma_f32 v5, 0xcf800000, v2, |v0|
	v_ashrrev_i32_e32 v0, 31, v0
	v_cvt_u32_f32_e32 v2, v2
	v_cvt_u32_f32_e32 v5, v5
	v_xor_b32_e32 v2, v2, v0
	v_xor_b32_e32 v5, v5, v0
	v_sub_co_u32 v5, vcc_lo, v5, v0
	v_sub_co_ci_u32_e64 v6, null, v2, v0, vcc_lo
	global_store_dwordx2 v[3:4], v[5:6], off
.LBB18_1093:
	s_andn2_b32 vcc_lo, exec_lo, s7
	s_cbranch_vccnz .LBB18_1095
; %bb.1094:
	v_cvt_i32_f32_e32 v0, v1
	s_waitcnt vmcnt(0)
	global_store_dword v[3:4], v0, off
.LBB18_1095:
	s_mov_b32 s7, 0
.LBB18_1096:
	s_andn2_b32 vcc_lo, exec_lo, s7
	s_cbranch_vccnz .LBB18_1098
; %bb.1097:
	v_cvt_i32_f32_e32 v0, v1
	s_waitcnt vmcnt(0)
	global_store_short v[3:4], v0, off
.LBB18_1098:
	s_mov_b32 s7, 0
.LBB18_1099:
	s_andn2_b32 vcc_lo, exec_lo, s7
	s_cbranch_vccnz .LBB18_1104
; %bb.1100:
	s_sext_i32_i16 s6, s6
	s_cmp_gt_i32 s6, 0
	s_mov_b32 s6, -1
	s_cbranch_scc0 .LBB18_1102
; %bb.1101:
	v_cvt_i32_f32_e32 v0, v1
	s_mov_b32 s6, 0
	s_waitcnt vmcnt(0)
	global_store_byte v[3:4], v0, off
.LBB18_1102:
	s_andn2_b32 vcc_lo, exec_lo, s6
	s_cbranch_vccnz .LBB18_1104
; %bb.1103:
	v_trunc_f32_e32 v0, v1
	v_mul_f32_e64 v1, 0x2f800000, |v0|
	v_floor_f32_e32 v1, v1
	v_fma_f32 v1, 0xcf800000, v1, |v0|
	v_ashrrev_i32_e32 v0, 31, v0
	v_cvt_u32_f32_e32 v1, v1
	v_xor_b32_e32 v1, v1, v0
	v_sub_nc_u32_e32 v0, v1, v0
	s_waitcnt vmcnt(0)
	global_store_byte v[3:4], v0, off
.LBB18_1104:
	s_or_b32 exec_lo, exec_lo, s0
	s_and_b32 s12, s1, exec_lo
                                        ; implicit-def: $vgpr15
                                        ; implicit-def: $vgpr8
.LBB18_1105:
	s_or_saveexec_b32 s13, s28
	s_mov_b32 s0, 0
                                        ; implicit-def: $vgpr0_vgpr1
                                        ; implicit-def: $sgpr6
                                        ; implicit-def: $vgpr7
	s_xor_b32 exec_lo, exec_lo, s13
	s_cbranch_execz .LBB18_1774
; %bb.1106:
	v_cndmask_b32_e64 v0, 0, 1, s27
	s_andn2_b32 vcc_lo, exec_lo, s27
	s_cbranch_vccnz .LBB18_1112
; %bb.1107:
	s_cmp_lg_u32 s24, 0
	s_mov_b32 s8, 0
	s_cbranch_scc0 .LBB18_1113
; %bb.1108:
	s_min_u32 s10, s25, 15
	s_add_i32 s10, s10, 1
	s_cmp_eq_u32 s25, 2
	s_cbranch_scc1 .LBB18_1114
; %bb.1109:
	v_mov_b32_e32 v13, 0
	v_mov_b32_e32 v6, 0
	v_mov_b32_e32 v1, v8
	s_and_b32 s9, s10, 28
	s_add_u32 s0, s2, 0xc4
	s_addc_u32 s1, s3, 0
	s_mov_b32 s11, 0
	s_mov_b64 s[6:7], s[2:3]
.LBB18_1110:                            ; =>This Inner Loop Header: Depth=1
	s_clause 0x1
	s_load_dwordx8 s[16:23], s[6:7], 0x4
	s_load_dwordx4 s[28:31], s[6:7], 0x24
	s_load_dwordx8 s[36:43], s[0:1], 0x0
	s_add_u32 s6, s6, 48
	s_addc_u32 s7, s7, 0
	s_add_i32 s11, s11, 4
	s_add_u32 s0, s0, 32
	s_addc_u32 s1, s1, 0
	s_cmp_lg_u32 s9, s11
	s_waitcnt lgkmcnt(0)
	v_mul_hi_u32 v2, s17, v1
	v_add_nc_u32_e32 v2, v1, v2
	v_lshrrev_b32_e32 v2, s18, v2
	s_waitcnt vmcnt(0)
	v_mul_hi_u32 v3, s20, v2
	v_mul_lo_u32 v5, v2, s16
	v_add_nc_u32_e32 v3, v2, v3
	v_sub_nc_u32_e32 v1, v1, v5
	v_lshrrev_b32_e32 v3, s21, v3
	v_mul_lo_u32 v5, v1, s36
	v_mul_lo_u32 v9, v1, s37
	v_mul_hi_u32 v4, s23, v3
	v_add_nc_u32_e32 v4, v3, v4
	v_lshrrev_b32_e32 v4, s28, v4
	v_mul_hi_u32 v7, s30, v4
	v_mul_lo_u32 v10, v4, s22
	v_add_nc_u32_e32 v1, v4, v7
	v_mul_lo_u32 v7, v3, s19
	v_sub_nc_u32_e32 v3, v3, v10
	v_lshrrev_b32_e32 v1, s31, v1
	v_mul_lo_u32 v10, v3, s40
	v_mul_lo_u32 v3, v3, s41
	v_sub_nc_u32_e32 v2, v2, v7
	v_mul_lo_u32 v11, v1, s29
	v_mul_lo_u32 v7, v2, s38
	;; [unrolled: 1-line block ×3, first 2 shown]
	v_sub_nc_u32_e32 v4, v4, v11
	v_add3_u32 v5, v5, v6, v7
	v_mul_lo_u32 v11, v4, s42
	v_mul_lo_u32 v4, v4, s43
	v_add3_u32 v2, v9, v13, v2
	v_add3_u32 v6, v10, v5, v11
	;; [unrolled: 1-line block ×3, first 2 shown]
	s_cbranch_scc1 .LBB18_1110
; %bb.1111:
	s_and_b32 s10, s10, 3
	s_cmp_eq_u32 s10, 0
	s_cbranch_scc0 .LBB18_1115
	s_branch .LBB18_1117
.LBB18_1112:
	s_mov_b32 s8, -1
                                        ; implicit-def: $vgpr6
                                        ; implicit-def: $vgpr13
	s_branch .LBB18_1117
.LBB18_1113:
	v_mov_b32_e32 v6, 0
	v_mov_b32_e32 v13, 0
	s_branch .LBB18_1117
.LBB18_1114:
	v_mov_b32_e32 v6, 0
	v_mov_b32_e32 v13, 0
	;; [unrolled: 1-line block ×3, first 2 shown]
	s_mov_b32 s9, 0
	s_and_b32 s10, s10, 3
	s_cmp_eq_u32 s10, 0
	s_cbranch_scc1 .LBB18_1117
.LBB18_1115:
	s_lshl_b32 s0, s9, 3
	s_mul_i32 s6, s9, 12
	s_add_u32 s0, s2, s0
	s_addc_u32 s1, s3, 0
	s_add_u32 s0, s0, 0xc4
	s_addc_u32 s1, s1, 0
	;; [unrolled: 2-line block ×3, first 2 shown]
	.p2align	6
.LBB18_1116:                            ; =>This Inner Loop Header: Depth=1
	s_clause 0x1
	s_load_dwordx2 s[14:15], s[6:7], 0x4
	s_load_dword s9, s[6:7], 0xc
	s_load_dwordx2 s[16:17], s[0:1], 0x0
	s_add_u32 s6, s6, 12
	s_addc_u32 s7, s7, 0
	s_add_u32 s0, s0, 8
	s_addc_u32 s1, s1, 0
	s_add_i32 s10, s10, -1
	s_cmp_lg_u32 s10, 0
	s_waitcnt lgkmcnt(0)
	v_mul_hi_u32 v2, s15, v1
	v_add_nc_u32_e32 v2, v1, v2
	v_lshrrev_b32_e32 v2, s9, v2
	s_waitcnt vmcnt(0)
	v_mul_lo_u32 v3, v2, s14
	v_sub_nc_u32_e32 v1, v1, v3
	v_mad_u64_u32 v[6:7], null, v1, s16, v[6:7]
	v_mad_u64_u32 v[13:14], null, v1, s17, v[13:14]
	v_mov_b32_e32 v1, v2
	s_cbranch_scc1 .LBB18_1116
.LBB18_1117:
	s_andn2_b32 vcc_lo, exec_lo, s8
	s_cbranch_vccnz .LBB18_1120
; %bb.1118:
	s_clause 0x1
	s_load_dwordx4 s[8:11], s[2:3], 0x4
	s_load_dwordx2 s[0:1], s[2:3], 0xc4
	s_cmp_lt_u32 s24, 2
	s_waitcnt lgkmcnt(0)
	v_mul_hi_u32 v1, s9, v8
	v_add_nc_u32_e32 v1, v8, v1
	v_lshrrev_b32_e32 v1, s10, v1
	v_mul_lo_u32 v2, v1, s8
	v_sub_nc_u32_e32 v2, v8, v2
	v_mul_lo_u32 v6, v2, s0
	v_mul_lo_u32 v13, v2, s1
	s_cbranch_scc1 .LBB18_1120
; %bb.1119:
	s_clause 0x1
	s_load_dwordx4 s[8:11], s[2:3], 0x10
	s_load_dwordx2 s[0:1], s[2:3], 0xcc
	s_waitcnt lgkmcnt(0)
	v_mul_hi_u32 v2, s9, v1
	v_add_nc_u32_e32 v2, v1, v2
	v_lshrrev_b32_e32 v2, s10, v2
	v_mul_lo_u32 v2, v2, s8
	v_sub_nc_u32_e32 v1, v1, v2
	v_mad_u64_u32 v[6:7], null, v1, s0, v[6:7]
	v_mad_u64_u32 v[13:14], null, v1, s1, v[13:14]
.LBB18_1120:
	v_cmp_ne_u32_e32 vcc_lo, 1, v0
	v_add_nc_u32_e32 v1, 0x80, v8
	s_cbranch_vccnz .LBB18_1126
; %bb.1121:
	s_cmp_lg_u32 s24, 0
	s_mov_b32 s8, 0
	s_cbranch_scc0 .LBB18_1127
; %bb.1122:
	s_min_u32 s10, s25, 15
	s_add_i32 s10, s10, 1
	s_cmp_eq_u32 s25, 2
	s_cbranch_scc1 .LBB18_1128
; %bb.1123:
	v_mov_b32_e32 v11, 0
	v_mov_b32_e32 v4, 0
	;; [unrolled: 1-line block ×3, first 2 shown]
	s_and_b32 s9, s10, 28
	s_add_u32 s0, s2, 0xc4
	s_addc_u32 s1, s3, 0
	s_mov_b32 s11, 0
	s_mov_b64 s[6:7], s[2:3]
.LBB18_1124:                            ; =>This Inner Loop Header: Depth=1
	s_clause 0x1
	s_load_dwordx8 s[16:23], s[6:7], 0x4
	s_load_dwordx4 s[28:31], s[6:7], 0x24
	s_load_dwordx8 s[36:43], s[0:1], 0x0
	s_add_u32 s6, s6, 48
	s_addc_u32 s7, s7, 0
	s_add_i32 s11, s11, 4
	s_add_u32 s0, s0, 32
	s_addc_u32 s1, s1, 0
	s_cmp_lg_u32 s9, s11
	s_waitcnt vmcnt(0) lgkmcnt(0)
	v_mul_hi_u32 v3, s17, v2
	v_add_nc_u32_e32 v3, v2, v3
	v_lshrrev_b32_e32 v3, s18, v3
	v_mul_hi_u32 v5, s20, v3
	v_mul_lo_u32 v9, v3, s16
	v_add_nc_u32_e32 v5, v3, v5
	v_sub_nc_u32_e32 v2, v2, v9
	v_lshrrev_b32_e32 v5, s21, v5
	v_mul_lo_u32 v9, v2, s36
	v_mul_lo_u32 v12, v2, s37
	v_mul_hi_u32 v7, s23, v5
	v_add_nc_u32_e32 v7, v5, v7
	v_lshrrev_b32_e32 v7, s28, v7
	v_mul_hi_u32 v10, s30, v7
	v_mul_lo_u32 v14, v7, s22
	v_add_nc_u32_e32 v2, v7, v10
	v_mul_lo_u32 v10, v5, s19
	v_sub_nc_u32_e32 v5, v5, v14
	v_lshrrev_b32_e32 v2, s31, v2
	v_mul_lo_u32 v14, v5, s40
	v_mul_lo_u32 v5, v5, s41
	v_sub_nc_u32_e32 v3, v3, v10
	v_mul_lo_u32 v16, v2, s29
	v_mul_lo_u32 v10, v3, s38
	;; [unrolled: 1-line block ×3, first 2 shown]
	v_sub_nc_u32_e32 v7, v7, v16
	v_add3_u32 v4, v9, v4, v10
	v_mul_lo_u32 v16, v7, s42
	v_mul_lo_u32 v7, v7, s43
	v_add3_u32 v3, v12, v11, v3
	v_add3_u32 v4, v14, v4, v16
	;; [unrolled: 1-line block ×3, first 2 shown]
	s_cbranch_scc1 .LBB18_1124
; %bb.1125:
	s_and_b32 s10, s10, 3
	s_cmp_eq_u32 s10, 0
	s_cbranch_scc0 .LBB18_1129
	s_branch .LBB18_1131
.LBB18_1126:
	s_mov_b32 s8, -1
                                        ; implicit-def: $vgpr4
                                        ; implicit-def: $vgpr11
	s_branch .LBB18_1131
.LBB18_1127:
	v_mov_b32_e32 v4, 0
	v_mov_b32_e32 v11, 0
	s_branch .LBB18_1131
.LBB18_1128:
	v_mov_b32_e32 v4, 0
	v_mov_b32_e32 v11, 0
	;; [unrolled: 1-line block ×3, first 2 shown]
	s_mov_b32 s9, 0
	s_and_b32 s10, s10, 3
	s_cmp_eq_u32 s10, 0
	s_cbranch_scc1 .LBB18_1131
.LBB18_1129:
	s_lshl_b32 s0, s9, 3
	s_mul_i32 s6, s9, 12
	s_add_u32 s0, s2, s0
	s_addc_u32 s1, s3, 0
	s_add_u32 s0, s0, 0xc4
	s_addc_u32 s1, s1, 0
	;; [unrolled: 2-line block ×3, first 2 shown]
	.p2align	6
.LBB18_1130:                            ; =>This Inner Loop Header: Depth=1
	s_clause 0x1
	s_load_dwordx2 s[14:15], s[6:7], 0x4
	s_load_dword s9, s[6:7], 0xc
	s_load_dwordx2 s[16:17], s[0:1], 0x0
	s_add_u32 s6, s6, 12
	s_addc_u32 s7, s7, 0
	s_add_u32 s0, s0, 8
	s_addc_u32 s1, s1, 0
	s_add_i32 s10, s10, -1
	s_cmp_lg_u32 s10, 0
	s_waitcnt vmcnt(0) lgkmcnt(0)
	v_mul_hi_u32 v3, s15, v2
	v_add_nc_u32_e32 v3, v2, v3
	v_lshrrev_b32_e32 v3, s9, v3
	v_mul_lo_u32 v5, v3, s14
	v_sub_nc_u32_e32 v2, v2, v5
	v_mad_u64_u32 v[4:5], null, v2, s16, v[4:5]
	v_mad_u64_u32 v[11:12], null, v2, s17, v[11:12]
	v_mov_b32_e32 v2, v3
	s_cbranch_scc1 .LBB18_1130
.LBB18_1131:
	s_andn2_b32 vcc_lo, exec_lo, s8
	s_cbranch_vccnz .LBB18_1134
; %bb.1132:
	s_clause 0x1
	s_load_dwordx4 s[8:11], s[2:3], 0x4
	s_load_dwordx2 s[0:1], s[2:3], 0xc4
	s_cmp_lt_u32 s24, 2
	s_waitcnt lgkmcnt(0)
	v_mul_hi_u32 v2, s9, v1
	v_add_nc_u32_e32 v2, v1, v2
	v_lshrrev_b32_e32 v2, s10, v2
	s_waitcnt vmcnt(0)
	v_mul_lo_u32 v3, v2, s8
	v_sub_nc_u32_e32 v1, v1, v3
	v_mul_lo_u32 v4, v1, s0
	v_mul_lo_u32 v11, v1, s1
	s_cbranch_scc1 .LBB18_1134
; %bb.1133:
	s_clause 0x1
	s_load_dwordx4 s[8:11], s[2:3], 0x10
	s_load_dwordx2 s[0:1], s[2:3], 0xcc
	s_waitcnt lgkmcnt(0)
	v_mul_hi_u32 v1, s9, v2
	v_add_nc_u32_e32 v1, v2, v1
	v_lshrrev_b32_e32 v1, s10, v1
	v_mul_lo_u32 v1, v1, s8
	v_sub_nc_u32_e32 v1, v2, v1
	v_mad_u64_u32 v[4:5], null, v1, s0, v[4:5]
	v_mad_u64_u32 v[11:12], null, v1, s1, v[11:12]
.LBB18_1134:
	v_cmp_ne_u32_e32 vcc_lo, 1, v0
	v_add_nc_u32_e32 v1, 0x100, v8
	s_cbranch_vccnz .LBB18_1140
; %bb.1135:
	s_cmp_lg_u32 s24, 0
	s_mov_b32 s8, 0
	s_cbranch_scc0 .LBB18_1141
; %bb.1136:
	s_min_u32 s10, s25, 15
	s_add_i32 s10, s10, 1
	s_cmp_eq_u32 s25, 2
	s_cbranch_scc1 .LBB18_1142
; %bb.1137:
	v_mov_b32_e32 v9, 0
	v_mov_b32_e32 v2, 0
	s_waitcnt vmcnt(0)
	v_mov_b32_e32 v3, v1
	s_and_b32 s9, s10, 28
	s_add_u32 s0, s2, 0xc4
	s_addc_u32 s1, s3, 0
	s_mov_b32 s11, 0
	s_mov_b64 s[6:7], s[2:3]
.LBB18_1138:                            ; =>This Inner Loop Header: Depth=1
	s_clause 0x1
	s_load_dwordx8 s[16:23], s[6:7], 0x4
	s_load_dwordx4 s[28:31], s[6:7], 0x24
	s_load_dwordx8 s[36:43], s[0:1], 0x0
	s_add_u32 s6, s6, 48
	s_addc_u32 s7, s7, 0
	s_add_i32 s11, s11, 4
	s_add_u32 s0, s0, 32
	s_addc_u32 s1, s1, 0
	s_cmp_lg_u32 s9, s11
	s_waitcnt lgkmcnt(0)
	v_mul_hi_u32 v5, s17, v3
	v_add_nc_u32_e32 v5, v3, v5
	v_lshrrev_b32_e32 v5, s18, v5
	v_mul_hi_u32 v7, s20, v5
	v_mul_lo_u32 v10, v5, s16
	v_add_nc_u32_e32 v7, v5, v7
	v_sub_nc_u32_e32 v3, v3, v10
	v_lshrrev_b32_e32 v7, s21, v7
	v_mul_lo_u32 v10, v3, s36
	v_mul_lo_u32 v14, v3, s37
	v_mul_hi_u32 v8, s23, v7
	v_add_nc_u32_e32 v8, v7, v8
	v_lshrrev_b32_e32 v8, s28, v8
	v_mul_hi_u32 v12, s30, v8
	v_mul_lo_u32 v16, v8, s22
	v_add_nc_u32_e32 v3, v8, v12
	v_mul_lo_u32 v12, v7, s19
	v_sub_nc_u32_e32 v7, v7, v16
	v_lshrrev_b32_e32 v3, s31, v3
	v_mul_lo_u32 v16, v7, s40
	v_mul_lo_u32 v7, v7, s41
	v_sub_nc_u32_e32 v5, v5, v12
	v_mul_lo_u32 v17, v3, s29
	v_mul_lo_u32 v12, v5, s38
	;; [unrolled: 1-line block ×3, first 2 shown]
	v_sub_nc_u32_e32 v8, v8, v17
	v_add3_u32 v2, v10, v2, v12
	v_mul_lo_u32 v17, v8, s42
	v_mul_lo_u32 v8, v8, s43
	v_add3_u32 v5, v14, v9, v5
	v_add3_u32 v2, v16, v2, v17
	;; [unrolled: 1-line block ×3, first 2 shown]
	s_cbranch_scc1 .LBB18_1138
; %bb.1139:
	s_and_b32 s10, s10, 3
	s_cmp_eq_u32 s10, 0
	s_cbranch_scc0 .LBB18_1143
	s_branch .LBB18_1145
.LBB18_1140:
	s_mov_b32 s8, -1
                                        ; implicit-def: $vgpr2
                                        ; implicit-def: $vgpr9
	s_branch .LBB18_1145
.LBB18_1141:
	v_mov_b32_e32 v2, 0
	v_mov_b32_e32 v9, 0
	s_branch .LBB18_1145
.LBB18_1142:
	v_mov_b32_e32 v2, 0
	v_mov_b32_e32 v9, 0
	s_waitcnt vmcnt(0)
	v_mov_b32_e32 v3, v1
	s_mov_b32 s9, 0
	s_and_b32 s10, s10, 3
	s_cmp_eq_u32 s10, 0
	s_cbranch_scc1 .LBB18_1145
.LBB18_1143:
	s_lshl_b32 s0, s9, 3
	s_mul_i32 s6, s9, 12
	s_add_u32 s0, s2, s0
	s_addc_u32 s1, s3, 0
	s_add_u32 s0, s0, 0xc4
	s_addc_u32 s1, s1, 0
	;; [unrolled: 2-line block ×3, first 2 shown]
	.p2align	6
.LBB18_1144:                            ; =>This Inner Loop Header: Depth=1
	s_clause 0x1
	s_load_dwordx2 s[14:15], s[6:7], 0x4
	s_load_dword s9, s[6:7], 0xc
	s_load_dwordx2 s[16:17], s[0:1], 0x0
	s_add_u32 s6, s6, 12
	s_addc_u32 s7, s7, 0
	s_add_u32 s0, s0, 8
	s_addc_u32 s1, s1, 0
	s_add_i32 s10, s10, -1
	s_cmp_lg_u32 s10, 0
	s_waitcnt lgkmcnt(0)
	v_mul_hi_u32 v5, s15, v3
	v_add_nc_u32_e32 v5, v3, v5
	v_lshrrev_b32_e32 v5, s9, v5
	v_mul_lo_u32 v7, v5, s14
	v_sub_nc_u32_e32 v7, v3, v7
	v_mad_u64_u32 v[2:3], null, v7, s16, v[2:3]
	v_mad_u64_u32 v[9:10], null, v7, s17, v[9:10]
	v_mov_b32_e32 v3, v5
	s_cbranch_scc1 .LBB18_1144
.LBB18_1145:
	s_andn2_b32 vcc_lo, exec_lo, s8
	s_cbranch_vccnz .LBB18_1148
; %bb.1146:
	s_clause 0x1
	s_load_dwordx4 s[8:11], s[2:3], 0x4
	s_load_dwordx2 s[0:1], s[2:3], 0xc4
	s_cmp_lt_u32 s24, 2
	s_waitcnt lgkmcnt(0)
	v_mul_hi_u32 v2, s9, v1
	v_add_nc_u32_e32 v2, v1, v2
	s_waitcnt vmcnt(0)
	v_lshrrev_b32_e32 v3, s10, v2
	v_mul_lo_u32 v2, v3, s8
	v_sub_nc_u32_e32 v1, v1, v2
	v_mul_lo_u32 v2, v1, s0
	v_mul_lo_u32 v9, v1, s1
	s_cbranch_scc1 .LBB18_1148
; %bb.1147:
	s_clause 0x1
	s_load_dwordx4 s[8:11], s[2:3], 0x10
	s_load_dwordx2 s[0:1], s[2:3], 0xcc
	s_waitcnt lgkmcnt(0)
	v_mul_hi_u32 v1, s9, v3
	v_add_nc_u32_e32 v1, v3, v1
	v_lshrrev_b32_e32 v1, s10, v1
	v_mul_lo_u32 v1, v1, s8
	v_sub_nc_u32_e32 v1, v3, v1
	v_mad_u64_u32 v[2:3], null, v1, s0, v[2:3]
	v_mad_u64_u32 v[9:10], null, v1, s1, v[9:10]
.LBB18_1148:
	v_cmp_ne_u32_e32 vcc_lo, 1, v0
	s_cbranch_vccnz .LBB18_1154
; %bb.1149:
	s_cmp_lg_u32 s24, 0
	s_mov_b32 s8, 0
	s_cbranch_scc0 .LBB18_1155
; %bb.1150:
	s_min_u32 s10, s25, 15
	s_add_i32 s10, s10, 1
	s_cmp_eq_u32 s25, 2
	s_cbranch_scc1 .LBB18_1156
; %bb.1151:
	v_mov_b32_e32 v7, 0
	v_mov_b32_e32 v0, 0
	;; [unrolled: 1-line block ×3, first 2 shown]
	s_and_b32 s9, s10, 28
	s_add_u32 s0, s2, 0xc4
	s_addc_u32 s1, s3, 0
	s_mov_b32 s11, 0
	s_mov_b64 s[6:7], s[2:3]
.LBB18_1152:                            ; =>This Inner Loop Header: Depth=1
	s_clause 0x1
	s_load_dwordx8 s[16:23], s[6:7], 0x4
	s_load_dwordx4 s[28:31], s[6:7], 0x24
	s_load_dwordx8 s[36:43], s[0:1], 0x0
	s_add_u32 s6, s6, 48
	s_addc_u32 s7, s7, 0
	s_add_i32 s11, s11, 4
	s_add_u32 s0, s0, 32
	s_addc_u32 s1, s1, 0
	s_cmp_lg_u32 s9, s11
	s_waitcnt vmcnt(0) lgkmcnt(0)
	v_mul_hi_u32 v3, s17, v1
	v_add_nc_u32_e32 v3, v1, v3
	v_lshrrev_b32_e32 v3, s18, v3
	v_mul_hi_u32 v5, s20, v3
	v_mul_lo_u32 v10, v3, s16
	v_add_nc_u32_e32 v5, v3, v5
	v_sub_nc_u32_e32 v1, v1, v10
	v_lshrrev_b32_e32 v5, s21, v5
	v_mul_lo_u32 v10, v1, s36
	v_mul_lo_u32 v14, v1, s37
	v_mul_hi_u32 v8, s23, v5
	v_add_nc_u32_e32 v8, v5, v8
	v_lshrrev_b32_e32 v8, s28, v8
	v_mul_hi_u32 v12, s30, v8
	v_mul_lo_u32 v16, v8, s22
	v_add_nc_u32_e32 v1, v8, v12
	v_mul_lo_u32 v12, v5, s19
	v_sub_nc_u32_e32 v5, v5, v16
	v_lshrrev_b32_e32 v1, s31, v1
	v_mul_lo_u32 v16, v5, s40
	v_mul_lo_u32 v5, v5, s41
	v_sub_nc_u32_e32 v3, v3, v12
	v_mul_lo_u32 v17, v1, s29
	v_mul_lo_u32 v12, v3, s38
	;; [unrolled: 1-line block ×3, first 2 shown]
	v_sub_nc_u32_e32 v8, v8, v17
	v_add3_u32 v0, v10, v0, v12
	v_mul_lo_u32 v17, v8, s42
	v_mul_lo_u32 v8, v8, s43
	v_add3_u32 v3, v14, v7, v3
	v_add3_u32 v0, v16, v0, v17
	;; [unrolled: 1-line block ×3, first 2 shown]
	s_cbranch_scc1 .LBB18_1152
; %bb.1153:
	s_and_b32 s10, s10, 3
	s_cmp_eq_u32 s10, 0
	s_cbranch_scc0 .LBB18_1157
	s_branch .LBB18_1159
.LBB18_1154:
	s_mov_b32 s8, -1
                                        ; implicit-def: $vgpr0
                                        ; implicit-def: $vgpr7
	s_branch .LBB18_1159
.LBB18_1155:
	v_mov_b32_e32 v0, 0
	v_mov_b32_e32 v7, 0
	s_branch .LBB18_1159
.LBB18_1156:
	v_mov_b32_e32 v0, 0
	v_mov_b32_e32 v7, 0
	;; [unrolled: 1-line block ×3, first 2 shown]
	s_mov_b32 s9, 0
	s_and_b32 s10, s10, 3
	s_cmp_eq_u32 s10, 0
	s_cbranch_scc1 .LBB18_1159
.LBB18_1157:
	s_lshl_b32 s0, s9, 3
	s_mul_i32 s6, s9, 12
	s_add_u32 s0, s2, s0
	s_addc_u32 s1, s3, 0
	s_add_u32 s0, s0, 0xc4
	s_addc_u32 s1, s1, 0
	;; [unrolled: 2-line block ×3, first 2 shown]
	.p2align	6
.LBB18_1158:                            ; =>This Inner Loop Header: Depth=1
	s_clause 0x1
	s_load_dwordx2 s[14:15], s[6:7], 0x4
	s_load_dword s9, s[6:7], 0xc
	s_load_dwordx2 s[16:17], s[0:1], 0x0
	s_add_u32 s6, s6, 12
	s_addc_u32 s7, s7, 0
	s_add_u32 s0, s0, 8
	s_addc_u32 s1, s1, 0
	s_add_i32 s10, s10, -1
	s_cmp_lg_u32 s10, 0
	s_waitcnt vmcnt(0) lgkmcnt(0)
	v_mul_hi_u32 v3, s15, v1
	v_add_nc_u32_e32 v3, v1, v3
	v_lshrrev_b32_e32 v3, s9, v3
	v_mul_lo_u32 v5, v3, s14
	v_sub_nc_u32_e32 v5, v1, v5
	v_mad_u64_u32 v[0:1], null, v5, s16, v[0:1]
	v_mad_u64_u32 v[7:8], null, v5, s17, v[7:8]
	v_mov_b32_e32 v1, v3
	s_cbranch_scc1 .LBB18_1158
.LBB18_1159:
	s_andn2_b32 vcc_lo, exec_lo, s8
	s_cbranch_vccnz .LBB18_1162
; %bb.1160:
	s_clause 0x1
	s_load_dwordx4 s[8:11], s[2:3], 0x4
	s_load_dwordx2 s[0:1], s[2:3], 0xc4
	s_cmp_lt_u32 s24, 2
	s_waitcnt lgkmcnt(0)
	v_mul_hi_u32 v0, s9, v15
	v_add_nc_u32_e32 v0, v15, v0
	v_lshrrev_b32_e32 v1, s10, v0
	v_mul_lo_u32 v0, v1, s8
	s_waitcnt vmcnt(0)
	v_sub_nc_u32_e32 v3, v15, v0
	v_mul_lo_u32 v0, v3, s0
	v_mul_lo_u32 v7, v3, s1
	s_cbranch_scc1 .LBB18_1162
; %bb.1161:
	s_clause 0x1
	s_load_dwordx4 s[8:11], s[2:3], 0x10
	s_load_dwordx2 s[0:1], s[2:3], 0xcc
	s_waitcnt lgkmcnt(0)
	v_mul_hi_u32 v3, s9, v1
	v_add_nc_u32_e32 v3, v1, v3
	v_lshrrev_b32_e32 v3, s10, v3
	v_mul_lo_u32 v3, v3, s8
	v_sub_nc_u32_e32 v3, v1, v3
	v_mad_u64_u32 v[0:1], null, v3, s0, v[0:1]
	v_mad_u64_u32 v[7:8], null, v3, s1, v[7:8]
.LBB18_1162:
	s_clause 0x1
	s_load_dwordx4 s[8:11], s[2:3], 0x148
	s_load_dword s2, s[4:5], 0x160
	s_waitcnt lgkmcnt(0)
	v_add_co_u32 v12, s0, s10, v13
	v_add_co_ci_u32_e64 v13, null, s11, 0, s0
	s_bfe_u32 s0, s2, 0x80010
	s_cmp_lt_i32 s0, 11
	s_cbranch_scc1 .LBB18_1169
; %bb.1163:
	s_and_b32 s1, 0xffff, s0
	s_mov_b32 s4, 0
	s_cmp_gt_i32 s1, 25
	s_cbranch_scc0 .LBB18_1171
; %bb.1164:
	s_cmp_gt_i32 s1, 28
	s_cbranch_scc0 .LBB18_1172
; %bb.1165:
	;; [unrolled: 3-line block ×4, first 2 shown]
	s_cmp_eq_u32 s1, 46
	s_mov_b32 s6, 0
	s_cbranch_scc0 .LBB18_1177
; %bb.1168:
	global_load_dword v1, v[12:13], off
	s_mov_b32 s3, 0
	s_mov_b32 s5, -1
	s_waitcnt vmcnt(0)
	v_lshlrev_b32_e32 v1, 16, v1
	s_branch .LBB18_1179
.LBB18_1169:
	s_mov_b32 s5, 0
	s_mov_b32 s1, s12
                                        ; implicit-def: $vgpr1
	s_cbranch_execnz .LBB18_1242
.LBB18_1170:
	s_andn2_b32 vcc_lo, exec_lo, s5
	s_cbranch_vccz .LBB18_1287
	s_branch .LBB18_1772
.LBB18_1171:
	s_mov_b32 s5, 0
	s_mov_b32 s3, 0
                                        ; implicit-def: $vgpr1
	s_cbranch_execnz .LBB18_1207
	s_branch .LBB18_1238
.LBB18_1172:
	s_mov_b32 s6, -1
	s_mov_b32 s5, 0
	s_mov_b32 s3, 0
                                        ; implicit-def: $vgpr1
	s_branch .LBB18_1188
.LBB18_1173:
	s_mov_b32 s5, 0
	s_mov_b32 s3, 0
                                        ; implicit-def: $vgpr1
	s_cbranch_execnz .LBB18_1184
	s_branch .LBB18_1187
.LBB18_1174:
	s_mov_b32 s6, -1
	s_mov_b32 s5, 0
	s_mov_b32 s3, 0
	s_branch .LBB18_1178
.LBB18_1175:
	s_andn2_saveexec_b32 s11, s11
	s_cbranch_execz .LBB18_1018
.LBB18_1176:
	v_add_f32_e64 v0, 0x46000000, |v1|
	s_andn2_b32 s10, s10, exec_lo
	v_and_b32_e32 v0, 0xff, v0
	v_cmp_ne_u32_e32 vcc_lo, 0, v0
	s_and_b32 s12, vcc_lo, exec_lo
	s_or_b32 s10, s10, s12
	s_or_b32 exec_lo, exec_lo, s11
	v_mov_b32_e32 v2, 0
	s_and_saveexec_b32 s11, s10
	s_cbranch_execnz .LBB18_1019
	s_branch .LBB18_1020
.LBB18_1177:
	s_mov_b32 s3, -1
	s_mov_b32 s5, 0
.LBB18_1178:
                                        ; implicit-def: $vgpr1
.LBB18_1179:
	s_and_b32 vcc_lo, exec_lo, s6
	s_cbranch_vccz .LBB18_1182
; %bb.1180:
	s_cmp_eq_u32 s1, 44
	s_cbranch_scc0 .LBB18_1183
; %bb.1181:
	global_load_ubyte v1, v[12:13], off
	s_mov_b32 s3, 0
	s_mov_b32 s5, -1
	s_waitcnt vmcnt(0)
	v_lshlrev_b32_e32 v3, 23, v1
	v_cmp_ne_u32_e32 vcc_lo, 0xff, v1
	v_cndmask_b32_e32 v3, 0x7f800001, v3, vcc_lo
	v_cmp_ne_u32_e32 vcc_lo, 0, v1
	v_cndmask_b32_e32 v1, 0x400000, v3, vcc_lo
.LBB18_1182:
	s_branch .LBB18_1187
.LBB18_1183:
	s_mov_b32 s3, -1
                                        ; implicit-def: $vgpr1
	s_branch .LBB18_1187
.LBB18_1184:
	s_cmp_eq_u32 s1, 29
	s_cbranch_scc0 .LBB18_1186
; %bb.1185:
	global_load_dwordx2 v[14:15], v[12:13], off
	s_mov_b32 s3, 0
	s_mov_b32 s5, -1
	s_mov_b32 s6, 0
	s_waitcnt vmcnt(0)
	v_ffbh_u32_e32 v1, v15
	v_min_u32_e32 v1, 32, v1
	v_lshlrev_b64 v[14:15], v1, v[14:15]
	v_sub_nc_u32_e32 v1, 32, v1
	v_min_u32_e32 v3, 1, v14
	v_or_b32_e32 v3, v15, v3
	v_cvt_f32_u32_e32 v3, v3
	v_ldexp_f32 v1, v3, v1
	s_branch .LBB18_1188
.LBB18_1186:
	s_mov_b32 s3, -1
                                        ; implicit-def: $vgpr1
.LBB18_1187:
	s_mov_b32 s6, 0
.LBB18_1188:
	s_and_b32 vcc_lo, exec_lo, s6
	s_cbranch_vccz .LBB18_1206
; %bb.1189:
	s_cmp_lt_i32 s1, 27
	s_cbranch_scc1 .LBB18_1192
; %bb.1190:
	s_cmp_gt_i32 s1, 27
	s_cbranch_scc0 .LBB18_1193
; %bb.1191:
	global_load_dword v1, v[12:13], off
	s_mov_b32 s5, 0
	s_waitcnt vmcnt(0)
	v_cvt_f32_u32_e32 v1, v1
	s_branch .LBB18_1194
.LBB18_1192:
	s_mov_b32 s5, -1
                                        ; implicit-def: $vgpr1
	s_branch .LBB18_1197
.LBB18_1193:
	s_mov_b32 s5, -1
                                        ; implicit-def: $vgpr1
.LBB18_1194:
	s_andn2_b32 vcc_lo, exec_lo, s5
	s_cbranch_vccnz .LBB18_1196
; %bb.1195:
	global_load_ushort v1, v[12:13], off
	s_waitcnt vmcnt(0)
	v_cvt_f32_u32_e32 v1, v1
.LBB18_1196:
	s_mov_b32 s5, 0
.LBB18_1197:
	s_andn2_b32 vcc_lo, exec_lo, s5
	s_cbranch_vccnz .LBB18_1205
; %bb.1198:
	global_load_ubyte v3, v[12:13], off
	s_mov_b32 s5, 0
	s_mov_b32 s6, exec_lo
	s_waitcnt vmcnt(0)
	v_cmpx_lt_i16_e32 0x7f, v3
	s_xor_b32 s6, exec_lo, s6
	s_cbranch_execz .LBB18_1218
; %bb.1199:
	s_mov_b32 s5, -1
	s_mov_b32 s7, exec_lo
	v_cmpx_eq_u16_e32 0x80, v3
; %bb.1200:
	s_xor_b32 s5, exec_lo, -1
; %bb.1201:
	s_or_b32 exec_lo, exec_lo, s7
	s_and_b32 s5, s5, exec_lo
	s_or_saveexec_b32 s6, s6
	v_mov_b32_e32 v1, 0x7f800001
	s_xor_b32 exec_lo, exec_lo, s6
	s_cbranch_execnz .LBB18_1219
.LBB18_1202:
	s_or_b32 exec_lo, exec_lo, s6
	s_and_saveexec_b32 s6, s5
	s_cbranch_execz .LBB18_1204
.LBB18_1203:
	v_and_b32_e32 v1, 0xffff, v3
	v_lshlrev_b32_e32 v3, 24, v3
	v_and_b32_e32 v5, 7, v1
	v_bfe_u32 v14, v1, 3, 4
	v_and_b32_e32 v3, 0x80000000, v3
	v_ffbh_u32_e32 v8, v5
	v_cmp_eq_u32_e32 vcc_lo, 0, v14
	v_min_u32_e32 v8, 32, v8
	v_subrev_nc_u32_e32 v10, 28, v8
	v_sub_nc_u32_e32 v8, 29, v8
	v_lshlrev_b32_e32 v1, v10, v1
	v_cndmask_b32_e32 v8, v14, v8, vcc_lo
	v_and_b32_e32 v1, 7, v1
	v_cndmask_b32_e32 v1, v5, v1, vcc_lo
	v_lshl_add_u32 v5, v8, 23, 0x3b800000
	v_lshlrev_b32_e32 v1, 20, v1
	v_or3_b32 v1, v3, v5, v1
.LBB18_1204:
	s_or_b32 exec_lo, exec_lo, s6
.LBB18_1205:
	s_mov_b32 s5, -1
.LBB18_1206:
	s_branch .LBB18_1238
.LBB18_1207:
	s_cmp_gt_i32 s1, 22
	s_cbranch_scc0 .LBB18_1217
; %bb.1208:
	s_cmp_lt_i32 s1, 24
	s_cbranch_scc1 .LBB18_1220
; %bb.1209:
	s_cmp_gt_i32 s1, 24
	s_cbranch_scc0 .LBB18_1221
; %bb.1210:
	global_load_ubyte v3, v[12:13], off
	s_mov_b32 s5, exec_lo
	s_waitcnt vmcnt(0)
	v_cmpx_lt_i16_e32 0x7f, v3
	s_xor_b32 s5, exec_lo, s5
	s_cbranch_execz .LBB18_1232
; %bb.1211:
	s_mov_b32 s4, -1
	s_mov_b32 s6, exec_lo
	v_cmpx_eq_u16_e32 0x80, v3
; %bb.1212:
	s_xor_b32 s4, exec_lo, -1
; %bb.1213:
	s_or_b32 exec_lo, exec_lo, s6
	s_and_b32 s4, s4, exec_lo
	s_or_saveexec_b32 s5, s5
	v_mov_b32_e32 v1, 0x7f800001
	s_xor_b32 exec_lo, exec_lo, s5
	s_cbranch_execnz .LBB18_1233
.LBB18_1214:
	s_or_b32 exec_lo, exec_lo, s5
	s_and_saveexec_b32 s5, s4
	s_cbranch_execz .LBB18_1216
.LBB18_1215:
	v_and_b32_e32 v1, 0xffff, v3
	v_lshlrev_b32_e32 v3, 24, v3
	v_and_b32_e32 v5, 3, v1
	v_bfe_u32 v14, v1, 2, 5
	v_and_b32_e32 v3, 0x80000000, v3
	v_ffbh_u32_e32 v8, v5
	v_cmp_eq_u32_e32 vcc_lo, 0, v14
	v_min_u32_e32 v8, 32, v8
	v_subrev_nc_u32_e32 v10, 29, v8
	v_sub_nc_u32_e32 v8, 30, v8
	v_lshlrev_b32_e32 v1, v10, v1
	v_cndmask_b32_e32 v8, v14, v8, vcc_lo
	v_and_b32_e32 v1, 3, v1
	v_cndmask_b32_e32 v1, v5, v1, vcc_lo
	v_lshl_add_u32 v5, v8, 23, 0x37800000
	v_lshlrev_b32_e32 v1, 21, v1
	v_or3_b32 v1, v3, v5, v1
.LBB18_1216:
	s_or_b32 exec_lo, exec_lo, s5
	s_mov_b32 s4, 0
	s_branch .LBB18_1222
.LBB18_1217:
                                        ; implicit-def: $vgpr1
	s_mov_b32 s4, 0
	s_branch .LBB18_1228
.LBB18_1218:
	s_or_saveexec_b32 s6, s6
	v_mov_b32_e32 v1, 0x7f800001
	s_xor_b32 exec_lo, exec_lo, s6
	s_cbranch_execz .LBB18_1202
.LBB18_1219:
	v_cmp_ne_u16_e32 vcc_lo, 0, v3
	v_mov_b32_e32 v1, 0
	s_andn2_b32 s5, s5, exec_lo
	s_and_b32 s7, vcc_lo, exec_lo
	s_or_b32 s5, s5, s7
	s_or_b32 exec_lo, exec_lo, s6
	s_and_saveexec_b32 s6, s5
	s_cbranch_execnz .LBB18_1203
	s_branch .LBB18_1204
.LBB18_1220:
	s_mov_b32 s4, -1
                                        ; implicit-def: $vgpr1
	s_branch .LBB18_1225
.LBB18_1221:
	s_mov_b32 s4, -1
                                        ; implicit-def: $vgpr1
.LBB18_1222:
	s_and_b32 vcc_lo, exec_lo, s4
	s_cbranch_vccz .LBB18_1224
; %bb.1223:
	global_load_ubyte v1, v[12:13], off
	s_waitcnt vmcnt(0)
	v_lshlrev_b32_e32 v1, 24, v1
	v_and_b32_e32 v3, 0x7f000000, v1
	v_ffbh_u32_e32 v5, v3
	v_add_nc_u32_e32 v10, 0x1000000, v3
	v_cmp_ne_u32_e32 vcc_lo, 0, v3
	v_min_u32_e32 v5, 32, v5
	v_sub_nc_u32_e64 v5, v5, 4 clamp
	v_lshlrev_b32_e32 v8, v5, v3
	v_lshlrev_b32_e32 v5, 23, v5
	v_lshrrev_b32_e32 v8, 4, v8
	v_sub_nc_u32_e32 v5, v8, v5
	v_ashrrev_i32_e32 v8, 8, v10
	v_add_nc_u32_e32 v5, 0x3c000000, v5
	v_and_or_b32 v5, 0x7f800000, v8, v5
	v_cndmask_b32_e32 v3, 0, v5, vcc_lo
	v_and_or_b32 v1, 0x80000000, v1, v3
.LBB18_1224:
	s_mov_b32 s4, 0
.LBB18_1225:
	s_andn2_b32 vcc_lo, exec_lo, s4
	s_cbranch_vccnz .LBB18_1227
; %bb.1226:
	global_load_ubyte v1, v[12:13], off
	s_waitcnt vmcnt(0)
	v_lshlrev_b32_e32 v3, 25, v1
	v_lshlrev_b16 v1, 8, v1
	v_lshrrev_b32_e32 v5, 4, v3
	v_and_or_b32 v8, 0x7f00, v1, 0.5
	v_cmp_gt_u32_e32 vcc_lo, 0x8000000, v3
	v_bfe_i32 v1, v1, 0, 16
	v_or_b32_e32 v5, 0x70000000, v5
	v_add_f32_e32 v8, -0.5, v8
	v_mul_f32_e32 v5, 0x7800000, v5
	v_cndmask_b32_e32 v3, v5, v8, vcc_lo
	v_and_or_b32 v1, 0x80000000, v1, v3
.LBB18_1227:
	s_mov_b32 s5, -1
	s_mov_b32 s4, 0
	s_cbranch_execnz .LBB18_1238
.LBB18_1228:
	s_cmp_gt_i32 s1, 14
	s_cbranch_scc0 .LBB18_1231
; %bb.1229:
	s_cmp_eq_u32 s1, 15
	s_cbranch_scc0 .LBB18_1234
; %bb.1230:
	global_load_ushort v1, v[12:13], off
	s_mov_b32 s3, 0
	s_mov_b32 s5, -1
	s_waitcnt vmcnt(0)
	v_lshlrev_b32_e32 v1, 16, v1
	s_branch .LBB18_1236
.LBB18_1231:
	s_mov_b32 s4, -1
	s_branch .LBB18_1235
.LBB18_1232:
	s_or_saveexec_b32 s5, s5
	v_mov_b32_e32 v1, 0x7f800001
	s_xor_b32 exec_lo, exec_lo, s5
	s_cbranch_execz .LBB18_1214
.LBB18_1233:
	v_cmp_ne_u16_e32 vcc_lo, 0, v3
	v_mov_b32_e32 v1, 0
	s_andn2_b32 s4, s4, exec_lo
	s_and_b32 s6, vcc_lo, exec_lo
	s_or_b32 s4, s4, s6
	s_or_b32 exec_lo, exec_lo, s5
	s_and_saveexec_b32 s5, s4
	s_cbranch_execnz .LBB18_1215
	s_branch .LBB18_1216
.LBB18_1234:
	s_mov_b32 s3, -1
.LBB18_1235:
                                        ; implicit-def: $vgpr1
.LBB18_1236:
	s_and_b32 vcc_lo, exec_lo, s4
	s_mov_b32 s4, 0
	s_cbranch_vccz .LBB18_1238
; %bb.1237:
	s_cmp_lg_u32 s1, 11
	s_mov_b32 s4, -1
	s_cselect_b32 s3, -1, 0
.LBB18_1238:
	s_and_b32 vcc_lo, exec_lo, s3
	s_mov_b32 s1, s12
	s_cbranch_vccnz .LBB18_1303
; %bb.1239:
	s_andn2_b32 vcc_lo, exec_lo, s4
	s_cbranch_vccnz .LBB18_1241
.LBB18_1240:
	global_load_ubyte v1, v[12:13], off
	s_mov_b32 s5, -1
	s_waitcnt vmcnt(0)
	v_cmp_ne_u16_e32 vcc_lo, 0, v1
	v_cndmask_b32_e64 v1, 0, 1.0, vcc_lo
.LBB18_1241:
	s_branch .LBB18_1170
.LBB18_1242:
	s_and_b32 s0, 0xffff, s0
	s_cmp_lt_i32 s0, 5
	s_cbranch_scc1 .LBB18_1247
; %bb.1243:
	s_cmp_lt_i32 s0, 8
	s_cbranch_scc1 .LBB18_1248
; %bb.1244:
	;; [unrolled: 3-line block ×3, first 2 shown]
	s_cmp_gt_i32 s0, 9
	s_cbranch_scc0 .LBB18_1250
; %bb.1246:
	global_load_dwordx2 v[14:15], v[12:13], off
	s_mov_b32 s3, 0
	s_waitcnt vmcnt(0)
	v_cvt_f32_f64_e32 v1, v[14:15]
	s_branch .LBB18_1251
.LBB18_1247:
                                        ; implicit-def: $vgpr1
	s_branch .LBB18_1268
.LBB18_1248:
                                        ; implicit-def: $vgpr1
	s_branch .LBB18_1257
.LBB18_1249:
	s_mov_b32 s3, -1
                                        ; implicit-def: $vgpr1
	s_branch .LBB18_1254
.LBB18_1250:
	s_mov_b32 s3, -1
                                        ; implicit-def: $vgpr1
.LBB18_1251:
	s_andn2_b32 vcc_lo, exec_lo, s3
	s_cbranch_vccnz .LBB18_1253
; %bb.1252:
	global_load_dword v1, v[12:13], off
.LBB18_1253:
	s_mov_b32 s3, 0
.LBB18_1254:
	s_andn2_b32 vcc_lo, exec_lo, s3
	s_cbranch_vccnz .LBB18_1256
; %bb.1255:
	global_load_dword v1, v[12:13], off
	s_waitcnt vmcnt(0)
	v_cvt_f32_f16_e32 v1, v1
.LBB18_1256:
	s_cbranch_execnz .LBB18_1267
.LBB18_1257:
	s_cmp_lt_i32 s0, 6
	s_cbranch_scc1 .LBB18_1260
; %bb.1258:
	s_cmp_gt_i32 s0, 6
	s_cbranch_scc0 .LBB18_1261
; %bb.1259:
	global_load_dwordx2 v[14:15], v[12:13], off
	s_mov_b32 s3, 0
	s_waitcnt vmcnt(0)
	v_cvt_f32_f64_e32 v1, v[14:15]
	s_branch .LBB18_1262
.LBB18_1260:
	s_mov_b32 s3, -1
                                        ; implicit-def: $vgpr1
	s_branch .LBB18_1265
.LBB18_1261:
	s_mov_b32 s3, -1
                                        ; implicit-def: $vgpr1
.LBB18_1262:
	s_andn2_b32 vcc_lo, exec_lo, s3
	s_cbranch_vccnz .LBB18_1264
; %bb.1263:
	global_load_dword v1, v[12:13], off
.LBB18_1264:
	s_mov_b32 s3, 0
.LBB18_1265:
	s_andn2_b32 vcc_lo, exec_lo, s3
	s_cbranch_vccnz .LBB18_1267
; %bb.1266:
	global_load_ushort v1, v[12:13], off
	s_waitcnt vmcnt(0)
	v_cvt_f32_f16_e32 v1, v1
.LBB18_1267:
	s_cbranch_execnz .LBB18_1286
.LBB18_1268:
	s_cmp_lt_i32 s0, 2
	s_cbranch_scc1 .LBB18_1272
; %bb.1269:
	s_cmp_lt_i32 s0, 3
	s_cbranch_scc1 .LBB18_1273
; %bb.1270:
	s_cmp_gt_i32 s0, 3
	s_cbranch_scc0 .LBB18_1274
; %bb.1271:
	global_load_dwordx2 v[14:15], v[12:13], off
	s_mov_b32 s3, 0
	s_waitcnt vmcnt(0)
	v_xor_b32_e32 v1, v14, v15
	v_ffbh_i32_e32 v3, v15
	v_ashrrev_i32_e32 v1, 31, v1
	v_add_nc_u32_e32 v3, -1, v3
	v_add_nc_u32_e32 v1, 32, v1
	v_min_u32_e32 v1, v3, v1
	v_lshlrev_b64 v[14:15], v1, v[14:15]
	v_sub_nc_u32_e32 v1, 32, v1
	v_min_u32_e32 v3, 1, v14
	v_or_b32_e32 v3, v15, v3
	v_cvt_f32_i32_e32 v3, v3
	v_ldexp_f32 v1, v3, v1
	s_branch .LBB18_1275
.LBB18_1272:
                                        ; implicit-def: $vgpr1
	s_branch .LBB18_1281
.LBB18_1273:
	s_mov_b32 s3, -1
                                        ; implicit-def: $vgpr1
	s_branch .LBB18_1278
.LBB18_1274:
	s_mov_b32 s3, -1
                                        ; implicit-def: $vgpr1
.LBB18_1275:
	s_andn2_b32 vcc_lo, exec_lo, s3
	s_cbranch_vccnz .LBB18_1277
; %bb.1276:
	global_load_dword v1, v[12:13], off
	s_waitcnt vmcnt(0)
	v_cvt_f32_i32_e32 v1, v1
.LBB18_1277:
	s_mov_b32 s3, 0
.LBB18_1278:
	s_andn2_b32 vcc_lo, exec_lo, s3
	s_cbranch_vccnz .LBB18_1280
; %bb.1279:
	global_load_sshort v1, v[12:13], off
	s_waitcnt vmcnt(0)
	v_cvt_f32_i32_e32 v1, v1
.LBB18_1280:
	s_cbranch_execnz .LBB18_1286
.LBB18_1281:
	s_cmp_gt_i32 s0, 0
	s_mov_b32 s0, 0
	s_cbranch_scc0 .LBB18_1283
; %bb.1282:
	global_load_sbyte v1, v[12:13], off
	s_waitcnt vmcnt(0)
	v_cvt_f32_i32_e32 v1, v1
	s_branch .LBB18_1284
.LBB18_1283:
	s_mov_b32 s0, -1
                                        ; implicit-def: $vgpr1
.LBB18_1284:
	s_andn2_b32 vcc_lo, exec_lo, s0
	s_cbranch_vccnz .LBB18_1286
; %bb.1285:
	global_load_ubyte v1, v[12:13], off
	s_waitcnt vmcnt(0)
	v_cvt_f32_ubyte0_e32 v1, v1
.LBB18_1286:
.LBB18_1287:
	s_waitcnt vmcnt(0)
	v_cmp_ge_f32_e64 s0, 0x41000000, |v1|
	v_mul_f32_e64 v3, 0x3fb8aa3b, |v1|
                                        ; implicit-def: $vgpr5
	s_and_saveexec_b32 s3, s0
	s_xor_b32 s0, exec_lo, s3
	s_cbranch_execz .LBB18_1289
; %bb.1288:
	v_fma_f32 v5, |v1|, 0.5, -2.0
	s_mov_b32 s3, 0xa2a2e5b9
	v_rndne_f32_e32 v12, v3
	v_fma_f32 v13, 0x3fb8aa3b, |v1|, -v3
	v_cmp_ngt_f32_e64 vcc_lo, 0xc2ce8ed0, |v1|
	v_fmaak_f32 v8, s3, v5, 0x24199b15
	v_sub_f32_e32 v3, v3, v12
	v_fma_f32 v13, 0x32a5705f, |v1|, v13
	v_cvt_i32_f32_e32 v12, v12
	v_fmaak_f32 v10, v5, v8, 0x22a2e5b9
	v_add_f32_e32 v3, v3, v13
	v_add_f32_e32 v10, 0xa58c275c, v10
	v_exp_f32_e32 v3, v3
	v_fma_f32 v8, v5, v10, -v8
	v_add_f32_e32 v8, 0x26f736c5, v8
	v_ldexp_f32 v3, v3, v12
	v_fma_f32 v10, v5, v8, -v10
	v_cndmask_b32_e32 v3, 0, v3, vcc_lo
	v_cmp_nlt_f32_e64 vcc_lo, 0x42b17218, |v1|
	v_add_f32_e32 v10, 0xa8528116, v10
	v_cndmask_b32_e32 v1, 0x7f800000, v3, vcc_lo
	v_fma_f32 v8, v5, v10, -v8
	v_add_f32_e32 v8, 0x29acda32, v8
	v_fma_f32 v10, v5, v8, -v10
	v_add_f32_e32 v10, 0xab08b263, v10
	;; [unrolled: 2-line block ×25, first 2 shown]
	v_sub_f32_e32 v5, v5, v8
	v_mul_f32_e32 v3, 0.5, v5
	v_mul_f32_e32 v5, v1, v3
                                        ; implicit-def: $vgpr1
                                        ; implicit-def: $vgpr3
.LBB18_1289:
	s_andn2_saveexec_b32 s3, s0
	s_cbranch_execz .LBB18_1291
; %bb.1290:
	v_and_b32_e32 v5, 0x7fffffff, v1
	s_mov_b32 s0, 0xa3056dbb
	v_fma_f32 v14, 0x3fb8aa3b, |v1|, -v3
	v_div_scale_f32 v8, null, v5, v5, 0x42000000
	v_div_scale_f32 v5, vcc_lo, 0x42000000, v5, 0x42000000
	v_fma_f32 v14, 0x32a5705f, |v1|, v14
	v_rcp_f32_e32 v10, v8
	v_fma_f32 v12, -v8, v10, 1.0
	v_fmac_f32_e32 v10, v12, v10
	v_mul_f32_e32 v12, v5, v10
	v_fma_f32 v13, -v8, v12, v5
	v_fmac_f32_e32 v12, v13, v10
	v_rndne_f32_e32 v13, v3
	v_fma_f32 v5, -v8, v12, v5
	v_sub_f32_e32 v3, v3, v13
	v_cvt_i32_f32_e32 v13, v13
	v_div_fmas_f32 v5, v5, v10, v12
	v_mul_f32_e64 v12, 0x4f800000, |v1|
	v_cmp_gt_f32_e64 vcc_lo, 0xf800000, |v1|
	v_add_f32_e32 v3, v3, v14
	v_div_fixup_f32 v5, v5, |v1|, 0x42000000
	v_cndmask_b32_e64 v12, |v1|, v12, vcc_lo
	v_exp_f32_e32 v3, v3
	v_add_f32_e32 v5, -2.0, v5
	v_sqrt_f32_e32 v15, v12
	v_fmaak_f32 v8, s0, v5, 0xa2b236d3
	v_ldexp_f32 v3, v3, v13
	v_fmaak_f32 v10, v5, v8, 0x23056dbb
	v_add_nc_u32_e32 v14, -1, v15
	v_add_nc_u32_e32 v16, 1, v15
	v_add_f32_e32 v10, 0x244df0c1, v10
	v_fma_f32 v17, -v14, v15, v12
	v_fma_f32 v18, -v16, v15, v12
	v_fma_f32 v8, v5, v10, -v8
	v_cmp_ge_f32_e64 s0, 0, v17
	v_add_f32_e32 v8, 0x241f9ee8, v8
	v_cndmask_b32_e64 v14, v15, v14, s0
	v_cmp_lt_f32_e64 s0, 0, v18
	v_fma_f32 v10, v5, v8, -v10
	v_add_f32_e32 v10, 0xa5a3005d, v10
	v_fma_f32 v8, v5, v10, -v8
	v_add_f32_e32 v8, 0xa5c5773f, v8
	;; [unrolled: 2-line block ×20, first 2 shown]
	v_fma_f32 v5, v5, v8, -v10
	v_cndmask_b32_e64 v8, v14, v16, s0
	v_cmp_ngt_f32_e64 s0, 0xc2ce8ed0, |v1|
	v_add_f32_e32 v5, 0x3f4df315, v5
	v_mul_f32_e32 v13, 0x37800000, v8
	v_cndmask_b32_e64 v3, 0, v3, s0
	v_cmp_nlt_f32_e64 s0, 0x42b17218, |v1|
	v_sub_f32_e32 v5, v5, v10
	v_cndmask_b32_e64 v1, 0x7f800000, v3, s0
	v_cndmask_b32_e32 v3, v8, v13, vcc_lo
	v_mul_f32_e32 v5, 0.5, v5
	v_cmp_class_f32_e64 vcc_lo, v12, 0x260
	v_mul_f32_e32 v1, v1, v5
	v_cndmask_b32_e32 v3, v3, v12, vcc_lo
	v_div_scale_f32 v5, null, v3, v3, v1
	v_rcp_f32_e32 v8, v5
	v_fma_f32 v10, -v5, v8, 1.0
	v_fmac_f32_e32 v8, v10, v8
	v_div_scale_f32 v10, vcc_lo, v1, v3, v1
	v_mul_f32_e32 v12, v10, v8
	v_fma_f32 v13, -v5, v12, v10
	v_fmac_f32_e32 v12, v13, v8
	v_fma_f32 v5, -v5, v12, v10
	v_div_fmas_f32 v5, v5, v8, v12
	v_div_fixup_f32 v5, v5, v3, v1
.LBB18_1291:
	s_or_b32 exec_lo, exec_lo, s3
	v_add_co_u32 v10, s3, s10, v11
	s_lshr_b32 s0, s2, 16
	v_add_co_ci_u32_e64 v11, null, s11, 0, s3
	s_and_b32 s3, s0, 0xff
	s_cmp_lt_i32 s3, 11
	s_cbranch_scc1 .LBB18_1298
; %bb.1292:
	s_and_b32 s0, 0xffff, s3
	s_mov_b32 s5, 0
	s_cmp_gt_i32 s0, 25
	s_cbranch_scc0 .LBB18_1300
; %bb.1293:
	s_cmp_gt_i32 s0, 28
	s_cbranch_scc0 .LBB18_1301
; %bb.1294:
	;; [unrolled: 3-line block ×4, first 2 shown]
	s_cmp_eq_u32 s0, 46
	s_mov_b32 s7, 0
	s_cbranch_scc0 .LBB18_1307
; %bb.1297:
	global_load_dword v1, v[10:11], off
	s_mov_b32 s4, 0
	s_mov_b32 s6, -1
	s_waitcnt vmcnt(0)
	v_lshlrev_b32_e32 v1, 16, v1
	s_branch .LBB18_1309
.LBB18_1298:
	s_mov_b32 s6, 0
                                        ; implicit-def: $vgpr1
	s_cbranch_execnz .LBB18_1374
.LBB18_1299:
	s_andn2_b32 vcc_lo, exec_lo, s6
	s_cbranch_vccnz .LBB18_1772
	s_branch .LBB18_1421
.LBB18_1300:
	s_mov_b32 s6, 0
	s_mov_b32 s4, 0
                                        ; implicit-def: $vgpr1
	s_cbranch_execnz .LBB18_1338
	s_branch .LBB18_1370
.LBB18_1301:
	s_mov_b32 s7, -1
	s_mov_b32 s6, 0
	s_mov_b32 s4, 0
                                        ; implicit-def: $vgpr1
	s_branch .LBB18_1319
.LBB18_1302:
	s_mov_b32 s7, -1
	s_mov_b32 s6, 0
	s_mov_b32 s4, 0
                                        ; implicit-def: $vgpr1
	s_branch .LBB18_1314
.LBB18_1303:
	s_or_b32 s1, s12, exec_lo
	s_trap 2
	s_cbranch_execz .LBB18_1240
	s_branch .LBB18_1241
.LBB18_1304:
	s_mov_b32 s7, -1
	s_mov_b32 s6, 0
	s_mov_b32 s4, 0
	s_branch .LBB18_1308
.LBB18_1305:
	s_andn2_saveexec_b32 s12, s12
	s_cbranch_execz .LBB18_1030
.LBB18_1306:
	v_add_f32_e64 v0, 0x42800000, |v1|
	s_andn2_b32 s11, s11, exec_lo
	v_and_b32_e32 v0, 0xff, v0
	v_cmp_ne_u32_e32 vcc_lo, 0, v0
	s_and_b32 s13, vcc_lo, exec_lo
	s_or_b32 s11, s11, s13
	s_or_b32 exec_lo, exec_lo, s12
	v_mov_b32_e32 v2, 0
	s_and_saveexec_b32 s12, s11
	s_cbranch_execnz .LBB18_1031
	s_branch .LBB18_1032
.LBB18_1307:
	s_mov_b32 s4, -1
	s_mov_b32 s6, 0
.LBB18_1308:
                                        ; implicit-def: $vgpr1
.LBB18_1309:
	s_and_b32 vcc_lo, exec_lo, s7
	s_cbranch_vccz .LBB18_1313
; %bb.1310:
	s_cmp_eq_u32 s0, 44
	s_cbranch_scc0 .LBB18_1312
; %bb.1311:
	global_load_ubyte v1, v[10:11], off
	s_mov_b32 s4, 0
	s_mov_b32 s6, -1
	s_waitcnt vmcnt(0)
	v_lshlrev_b32_e32 v3, 23, v1
	v_cmp_ne_u32_e32 vcc_lo, 0xff, v1
	v_cndmask_b32_e32 v3, 0x7f800001, v3, vcc_lo
	v_cmp_ne_u32_e32 vcc_lo, 0, v1
	v_cndmask_b32_e32 v1, 0x400000, v3, vcc_lo
	s_branch .LBB18_1313
.LBB18_1312:
	s_mov_b32 s4, -1
                                        ; implicit-def: $vgpr1
.LBB18_1313:
	s_mov_b32 s7, 0
.LBB18_1314:
	s_and_b32 vcc_lo, exec_lo, s7
	s_cbranch_vccz .LBB18_1318
; %bb.1315:
	s_cmp_eq_u32 s0, 29
	s_cbranch_scc0 .LBB18_1317
; %bb.1316:
	global_load_dwordx2 v[12:13], v[10:11], off
	s_mov_b32 s4, 0
	s_mov_b32 s6, -1
	s_mov_b32 s7, 0
	s_waitcnt vmcnt(0)
	v_ffbh_u32_e32 v1, v13
	v_min_u32_e32 v1, 32, v1
	v_lshlrev_b64 v[12:13], v1, v[12:13]
	v_sub_nc_u32_e32 v1, 32, v1
	v_min_u32_e32 v3, 1, v12
	v_or_b32_e32 v3, v13, v3
	v_cvt_f32_u32_e32 v3, v3
	v_ldexp_f32 v1, v3, v1
	s_branch .LBB18_1319
.LBB18_1317:
	s_mov_b32 s4, -1
                                        ; implicit-def: $vgpr1
.LBB18_1318:
	s_mov_b32 s7, 0
.LBB18_1319:
	s_and_b32 vcc_lo, exec_lo, s7
	s_cbranch_vccz .LBB18_1337
; %bb.1320:
	s_cmp_lt_i32 s0, 27
	s_cbranch_scc1 .LBB18_1323
; %bb.1321:
	s_cmp_gt_i32 s0, 27
	s_cbranch_scc0 .LBB18_1324
; %bb.1322:
	global_load_dword v1, v[10:11], off
	s_mov_b32 s6, 0
	s_waitcnt vmcnt(0)
	v_cvt_f32_u32_e32 v1, v1
	s_branch .LBB18_1325
.LBB18_1323:
	s_mov_b32 s6, -1
                                        ; implicit-def: $vgpr1
	s_branch .LBB18_1328
.LBB18_1324:
	s_mov_b32 s6, -1
                                        ; implicit-def: $vgpr1
.LBB18_1325:
	s_andn2_b32 vcc_lo, exec_lo, s6
	s_cbranch_vccnz .LBB18_1327
; %bb.1326:
	global_load_ushort v1, v[10:11], off
	s_waitcnt vmcnt(0)
	v_cvt_f32_u32_e32 v1, v1
.LBB18_1327:
	s_mov_b32 s6, 0
.LBB18_1328:
	s_andn2_b32 vcc_lo, exec_lo, s6
	s_cbranch_vccnz .LBB18_1336
; %bb.1329:
	global_load_ubyte v3, v[10:11], off
	s_mov_b32 s6, 0
	s_mov_b32 s7, exec_lo
	s_waitcnt vmcnt(0)
	v_cmpx_lt_i16_e32 0x7f, v3
	s_xor_b32 s7, exec_lo, s7
	s_cbranch_execz .LBB18_1349
; %bb.1330:
	s_mov_b32 s6, -1
	s_mov_b32 s14, exec_lo
	v_cmpx_eq_u16_e32 0x80, v3
; %bb.1331:
	s_xor_b32 s6, exec_lo, -1
; %bb.1332:
	s_or_b32 exec_lo, exec_lo, s14
	s_and_b32 s6, s6, exec_lo
	s_or_saveexec_b32 s7, s7
	v_mov_b32_e32 v1, 0x7f800001
	s_xor_b32 exec_lo, exec_lo, s7
	s_cbranch_execnz .LBB18_1350
.LBB18_1333:
	s_or_b32 exec_lo, exec_lo, s7
	s_and_saveexec_b32 s7, s6
	s_cbranch_execz .LBB18_1335
.LBB18_1334:
	v_and_b32_e32 v1, 0xffff, v3
	v_lshlrev_b32_e32 v3, 24, v3
	v_and_b32_e32 v8, 7, v1
	v_bfe_u32 v14, v1, 3, 4
	v_and_b32_e32 v3, 0x80000000, v3
	v_ffbh_u32_e32 v12, v8
	v_cmp_eq_u32_e32 vcc_lo, 0, v14
	v_min_u32_e32 v12, 32, v12
	v_subrev_nc_u32_e32 v13, 28, v12
	v_sub_nc_u32_e32 v12, 29, v12
	v_lshlrev_b32_e32 v1, v13, v1
	v_cndmask_b32_e32 v12, v14, v12, vcc_lo
	v_and_b32_e32 v1, 7, v1
	v_cndmask_b32_e32 v1, v8, v1, vcc_lo
	v_lshl_add_u32 v8, v12, 23, 0x3b800000
	v_lshlrev_b32_e32 v1, 20, v1
	v_or3_b32 v1, v3, v8, v1
.LBB18_1335:
	s_or_b32 exec_lo, exec_lo, s7
.LBB18_1336:
	s_mov_b32 s6, -1
.LBB18_1337:
	s_branch .LBB18_1370
.LBB18_1338:
	s_cmp_gt_i32 s0, 22
	s_cbranch_scc0 .LBB18_1348
; %bb.1339:
	s_cmp_lt_i32 s0, 24
	s_cbranch_scc1 .LBB18_1351
; %bb.1340:
	s_cmp_gt_i32 s0, 24
	s_cbranch_scc0 .LBB18_1352
; %bb.1341:
	global_load_ubyte v3, v[10:11], off
	s_mov_b32 s6, exec_lo
	s_waitcnt vmcnt(0)
	v_cmpx_lt_i16_e32 0x7f, v3
	s_xor_b32 s6, exec_lo, s6
	s_cbranch_execz .LBB18_1364
; %bb.1342:
	s_mov_b32 s5, -1
	s_mov_b32 s7, exec_lo
	v_cmpx_eq_u16_e32 0x80, v3
; %bb.1343:
	s_xor_b32 s5, exec_lo, -1
; %bb.1344:
	s_or_b32 exec_lo, exec_lo, s7
	s_and_b32 s5, s5, exec_lo
	s_or_saveexec_b32 s6, s6
	v_mov_b32_e32 v1, 0x7f800001
	s_xor_b32 exec_lo, exec_lo, s6
	s_cbranch_execnz .LBB18_1365
.LBB18_1345:
	s_or_b32 exec_lo, exec_lo, s6
	s_and_saveexec_b32 s6, s5
	s_cbranch_execz .LBB18_1347
.LBB18_1346:
	v_and_b32_e32 v1, 0xffff, v3
	v_lshlrev_b32_e32 v3, 24, v3
	v_and_b32_e32 v8, 3, v1
	v_bfe_u32 v14, v1, 2, 5
	v_and_b32_e32 v3, 0x80000000, v3
	v_ffbh_u32_e32 v12, v8
	v_cmp_eq_u32_e32 vcc_lo, 0, v14
	v_min_u32_e32 v12, 32, v12
	v_subrev_nc_u32_e32 v13, 29, v12
	v_sub_nc_u32_e32 v12, 30, v12
	v_lshlrev_b32_e32 v1, v13, v1
	v_cndmask_b32_e32 v12, v14, v12, vcc_lo
	v_and_b32_e32 v1, 3, v1
	v_cndmask_b32_e32 v1, v8, v1, vcc_lo
	v_lshl_add_u32 v8, v12, 23, 0x37800000
	v_lshlrev_b32_e32 v1, 21, v1
	v_or3_b32 v1, v3, v8, v1
.LBB18_1347:
	s_or_b32 exec_lo, exec_lo, s6
	s_mov_b32 s5, 0
	s_branch .LBB18_1353
.LBB18_1348:
	s_mov_b32 s5, -1
                                        ; implicit-def: $vgpr1
	s_branch .LBB18_1359
.LBB18_1349:
	s_or_saveexec_b32 s7, s7
	v_mov_b32_e32 v1, 0x7f800001
	s_xor_b32 exec_lo, exec_lo, s7
	s_cbranch_execz .LBB18_1333
.LBB18_1350:
	v_cmp_ne_u16_e32 vcc_lo, 0, v3
	v_mov_b32_e32 v1, 0
	s_andn2_b32 s6, s6, exec_lo
	s_and_b32 s14, vcc_lo, exec_lo
	s_or_b32 s6, s6, s14
	s_or_b32 exec_lo, exec_lo, s7
	s_and_saveexec_b32 s7, s6
	s_cbranch_execnz .LBB18_1334
	s_branch .LBB18_1335
.LBB18_1351:
	s_mov_b32 s5, -1
                                        ; implicit-def: $vgpr1
	s_branch .LBB18_1356
.LBB18_1352:
	s_mov_b32 s5, -1
                                        ; implicit-def: $vgpr1
.LBB18_1353:
	s_and_b32 vcc_lo, exec_lo, s5
	s_cbranch_vccz .LBB18_1355
; %bb.1354:
	global_load_ubyte v1, v[10:11], off
	s_waitcnt vmcnt(0)
	v_lshlrev_b32_e32 v1, 24, v1
	v_and_b32_e32 v3, 0x7f000000, v1
	v_ffbh_u32_e32 v8, v3
	v_add_nc_u32_e32 v13, 0x1000000, v3
	v_cmp_ne_u32_e32 vcc_lo, 0, v3
	v_min_u32_e32 v8, 32, v8
	v_sub_nc_u32_e64 v8, v8, 4 clamp
	v_lshlrev_b32_e32 v12, v8, v3
	v_lshlrev_b32_e32 v8, 23, v8
	v_lshrrev_b32_e32 v12, 4, v12
	v_sub_nc_u32_e32 v8, v12, v8
	v_ashrrev_i32_e32 v12, 8, v13
	v_add_nc_u32_e32 v8, 0x3c000000, v8
	v_and_or_b32 v8, 0x7f800000, v12, v8
	v_cndmask_b32_e32 v3, 0, v8, vcc_lo
	v_and_or_b32 v1, 0x80000000, v1, v3
.LBB18_1355:
	s_mov_b32 s5, 0
.LBB18_1356:
	s_andn2_b32 vcc_lo, exec_lo, s5
	s_cbranch_vccnz .LBB18_1358
; %bb.1357:
	global_load_ubyte v1, v[10:11], off
	s_waitcnt vmcnt(0)
	v_lshlrev_b32_e32 v3, 25, v1
	v_lshlrev_b16 v1, 8, v1
	v_lshrrev_b32_e32 v8, 4, v3
	v_and_or_b32 v12, 0x7f00, v1, 0.5
	v_cmp_gt_u32_e32 vcc_lo, 0x8000000, v3
	v_bfe_i32 v1, v1, 0, 16
	v_or_b32_e32 v8, 0x70000000, v8
	v_add_f32_e32 v12, -0.5, v12
	v_mul_f32_e32 v8, 0x7800000, v8
	v_cndmask_b32_e32 v3, v8, v12, vcc_lo
	v_and_or_b32 v1, 0x80000000, v1, v3
.LBB18_1358:
	s_mov_b32 s5, 0
	s_mov_b32 s6, -1
.LBB18_1359:
	s_andn2_b32 vcc_lo, exec_lo, s5
	s_mov_b32 s5, 0
	s_cbranch_vccnz .LBB18_1370
; %bb.1360:
	s_cmp_gt_i32 s0, 14
	s_cbranch_scc0 .LBB18_1363
; %bb.1361:
	s_cmp_eq_u32 s0, 15
	s_cbranch_scc0 .LBB18_1366
; %bb.1362:
	global_load_ushort v1, v[10:11], off
	s_mov_b32 s4, 0
	s_mov_b32 s6, -1
	s_waitcnt vmcnt(0)
	v_lshlrev_b32_e32 v1, 16, v1
	s_branch .LBB18_1368
.LBB18_1363:
	s_mov_b32 s5, -1
	s_branch .LBB18_1367
.LBB18_1364:
	s_or_saveexec_b32 s6, s6
	v_mov_b32_e32 v1, 0x7f800001
	s_xor_b32 exec_lo, exec_lo, s6
	s_cbranch_execz .LBB18_1345
.LBB18_1365:
	v_cmp_ne_u16_e32 vcc_lo, 0, v3
	v_mov_b32_e32 v1, 0
	s_andn2_b32 s5, s5, exec_lo
	s_and_b32 s7, vcc_lo, exec_lo
	s_or_b32 s5, s5, s7
	s_or_b32 exec_lo, exec_lo, s6
	s_and_saveexec_b32 s6, s5
	s_cbranch_execnz .LBB18_1346
	s_branch .LBB18_1347
.LBB18_1366:
	s_mov_b32 s4, -1
.LBB18_1367:
                                        ; implicit-def: $vgpr1
.LBB18_1368:
	s_and_b32 vcc_lo, exec_lo, s5
	s_mov_b32 s5, 0
	s_cbranch_vccz .LBB18_1370
; %bb.1369:
	s_cmp_lg_u32 s0, 11
	s_mov_b32 s5, -1
	s_cselect_b32 s4, -1, 0
.LBB18_1370:
	s_and_b32 vcc_lo, exec_lo, s4
	s_cbranch_vccnz .LBB18_1437
; %bb.1371:
	s_andn2_b32 vcc_lo, exec_lo, s5
	s_cbranch_vccnz .LBB18_1373
.LBB18_1372:
	global_load_ubyte v1, v[10:11], off
	s_mov_b32 s6, -1
	s_waitcnt vmcnt(0)
	v_cmp_ne_u16_e32 vcc_lo, 0, v1
	v_cndmask_b32_e64 v1, 0, 1.0, vcc_lo
.LBB18_1373:
	s_branch .LBB18_1299
.LBB18_1374:
	s_and_b32 s0, 0xffff, s3
	s_cmp_lt_i32 s0, 5
	s_cbranch_scc1 .LBB18_1379
; %bb.1375:
	s_cmp_lt_i32 s0, 8
	s_cbranch_scc1 .LBB18_1380
; %bb.1376:
	;; [unrolled: 3-line block ×3, first 2 shown]
	s_cmp_gt_i32 s0, 9
	s_cbranch_scc0 .LBB18_1382
; %bb.1378:
	global_load_dwordx2 v[12:13], v[10:11], off
	s_mov_b32 s4, 0
	s_waitcnt vmcnt(0)
	v_cvt_f32_f64_e32 v1, v[12:13]
	s_branch .LBB18_1383
.LBB18_1379:
                                        ; implicit-def: $vgpr1
	s_branch .LBB18_1401
.LBB18_1380:
	s_mov_b32 s4, -1
                                        ; implicit-def: $vgpr1
	s_branch .LBB18_1389
.LBB18_1381:
	s_mov_b32 s4, -1
                                        ; implicit-def: $vgpr1
	s_branch .LBB18_1386
.LBB18_1382:
	s_mov_b32 s4, -1
                                        ; implicit-def: $vgpr1
.LBB18_1383:
	s_andn2_b32 vcc_lo, exec_lo, s4
	s_cbranch_vccnz .LBB18_1385
; %bb.1384:
	global_load_dword v1, v[10:11], off
.LBB18_1385:
	s_mov_b32 s4, 0
.LBB18_1386:
	s_andn2_b32 vcc_lo, exec_lo, s4
	s_cbranch_vccnz .LBB18_1388
; %bb.1387:
	global_load_dword v1, v[10:11], off
	s_waitcnt vmcnt(0)
	v_cvt_f32_f16_e32 v1, v1
.LBB18_1388:
	s_mov_b32 s4, 0
.LBB18_1389:
	s_andn2_b32 vcc_lo, exec_lo, s4
	s_cbranch_vccnz .LBB18_1400
; %bb.1390:
	s_cmp_lt_i32 s0, 6
	s_cbranch_scc1 .LBB18_1393
; %bb.1391:
	s_cmp_gt_i32 s0, 6
	s_cbranch_scc0 .LBB18_1394
; %bb.1392:
	global_load_dwordx2 v[12:13], v[10:11], off
	s_mov_b32 s4, 0
	s_waitcnt vmcnt(0)
	v_cvt_f32_f64_e32 v1, v[12:13]
	s_branch .LBB18_1395
.LBB18_1393:
	s_mov_b32 s4, -1
                                        ; implicit-def: $vgpr1
	s_branch .LBB18_1398
.LBB18_1394:
	s_mov_b32 s4, -1
                                        ; implicit-def: $vgpr1
.LBB18_1395:
	s_andn2_b32 vcc_lo, exec_lo, s4
	s_cbranch_vccnz .LBB18_1397
; %bb.1396:
	global_load_dword v1, v[10:11], off
.LBB18_1397:
	s_mov_b32 s4, 0
.LBB18_1398:
	s_andn2_b32 vcc_lo, exec_lo, s4
	s_cbranch_vccnz .LBB18_1400
; %bb.1399:
	global_load_ushort v1, v[10:11], off
	s_waitcnt vmcnt(0)
	v_cvt_f32_f16_e32 v1, v1
.LBB18_1400:
	s_cbranch_execnz .LBB18_1420
.LBB18_1401:
	s_cmp_lt_i32 s0, 2
	s_cbranch_scc1 .LBB18_1405
; %bb.1402:
	s_cmp_lt_i32 s0, 3
	s_cbranch_scc1 .LBB18_1406
; %bb.1403:
	s_cmp_gt_i32 s0, 3
	s_cbranch_scc0 .LBB18_1407
; %bb.1404:
	global_load_dwordx2 v[12:13], v[10:11], off
	s_mov_b32 s4, 0
	s_waitcnt vmcnt(0)
	v_xor_b32_e32 v1, v12, v13
	v_ffbh_i32_e32 v3, v13
	v_ashrrev_i32_e32 v1, 31, v1
	v_add_nc_u32_e32 v3, -1, v3
	v_add_nc_u32_e32 v1, 32, v1
	v_min_u32_e32 v1, v3, v1
	v_lshlrev_b64 v[12:13], v1, v[12:13]
	v_sub_nc_u32_e32 v1, 32, v1
	v_min_u32_e32 v3, 1, v12
	v_or_b32_e32 v3, v13, v3
	v_cvt_f32_i32_e32 v3, v3
	v_ldexp_f32 v1, v3, v1
	s_branch .LBB18_1408
.LBB18_1405:
	s_mov_b32 s4, -1
                                        ; implicit-def: $vgpr1
	s_branch .LBB18_1414
.LBB18_1406:
	s_mov_b32 s4, -1
                                        ; implicit-def: $vgpr1
	s_branch .LBB18_1411
.LBB18_1407:
	s_mov_b32 s4, -1
                                        ; implicit-def: $vgpr1
.LBB18_1408:
	s_andn2_b32 vcc_lo, exec_lo, s4
	s_cbranch_vccnz .LBB18_1410
; %bb.1409:
	global_load_dword v1, v[10:11], off
	s_waitcnt vmcnt(0)
	v_cvt_f32_i32_e32 v1, v1
.LBB18_1410:
	s_mov_b32 s4, 0
.LBB18_1411:
	s_andn2_b32 vcc_lo, exec_lo, s4
	s_cbranch_vccnz .LBB18_1413
; %bb.1412:
	global_load_sshort v1, v[10:11], off
	s_waitcnt vmcnt(0)
	v_cvt_f32_i32_e32 v1, v1
.LBB18_1413:
	s_mov_b32 s4, 0
.LBB18_1414:
	s_andn2_b32 vcc_lo, exec_lo, s4
	s_cbranch_vccnz .LBB18_1420
; %bb.1415:
	s_cmp_gt_i32 s0, 0
	s_mov_b32 s0, 0
	s_cbranch_scc0 .LBB18_1417
; %bb.1416:
	global_load_sbyte v1, v[10:11], off
	s_waitcnt vmcnt(0)
	v_cvt_f32_i32_e32 v1, v1
	s_branch .LBB18_1418
.LBB18_1417:
	s_mov_b32 s0, -1
                                        ; implicit-def: $vgpr1
.LBB18_1418:
	s_andn2_b32 vcc_lo, exec_lo, s0
	s_cbranch_vccnz .LBB18_1420
; %bb.1419:
	global_load_ubyte v1, v[10:11], off
	s_waitcnt vmcnt(0)
	v_cvt_f32_ubyte0_e32 v1, v1
.LBB18_1420:
.LBB18_1421:
	s_waitcnt vmcnt(0)
	v_cmp_ge_f32_e64 s0, 0x41000000, |v1|
                                        ; implicit-def: $vgpr3
	s_and_saveexec_b32 s4, s0
	s_xor_b32 s0, exec_lo, s4
	s_cbranch_execz .LBB18_1423
; %bb.1422:
	v_fma_f32 v3, |v1|, 0.5, -2.0
	s_mov_b32 s4, 0xa2a2e5b9
	v_mul_f32_e64 v11, 0x3fb8aa3b, |v1|
	v_cmp_ngt_f32_e64 vcc_lo, 0xc2ce8ed0, |v1|
	v_fmaak_f32 v8, s4, v3, 0x24199b15
	v_rndne_f32_e32 v12, v11
	v_fma_f32 v13, 0x3fb8aa3b, |v1|, -v11
	v_fmaak_f32 v10, v3, v8, 0x22a2e5b9
	v_sub_f32_e32 v11, v11, v12
	v_fma_f32 v13, 0x32a5705f, |v1|, v13
	v_cvt_i32_f32_e32 v12, v12
	v_add_f32_e32 v10, 0xa58c275c, v10
	v_add_f32_e32 v11, v11, v13
	v_fma_f32 v8, v3, v10, -v8
	v_exp_f32_e32 v11, v11
	v_add_f32_e32 v8, 0x26f736c5, v8
	v_fma_f32 v10, v3, v8, -v10
	v_add_f32_e32 v10, 0xa8528116, v10
	v_fma_f32 v8, v3, v10, -v8
	v_add_f32_e32 v8, 0x29acda32, v8
	v_fma_f32 v10, v3, v8, -v10
	v_add_f32_e32 v10, 0xab08b263, v10
	v_fma_f32 v8, v3, v10, -v8
	v_add_f32_e32 v8, 0x2c4ff17f, v8
	v_fma_f32 v10, v3, v8, -v10
	v_add_f32_e32 v10, 0xad97e4ac, v10
	v_fma_f32 v8, v3, v10, -v8
	v_add_f32_e32 v8, 0x2ed4c5f6, v8
	v_fma_f32 v10, v3, v8, -v10
	v_add_f32_e32 v10, 0xb00ea7f1, v10
	v_fma_f32 v8, v3, v10, -v8
	v_add_f32_e32 v8, 0x3136c81d, v8
	v_fma_f32 v10, v3, v8, -v10
	v_add_f32_e32 v10, 0xb25f57b4, v10
	v_fma_f32 v8, v3, v10, -v8
	v_add_f32_e32 v8, 0x3381dbb5, v8
	v_fma_f32 v10, v3, v8, -v10
	v_add_f32_e32 v10, 0xb48f631c, v10
	v_fma_f32 v8, v3, v10, -v8
	v_add_f32_e32 v8, 0x3595f925, v8
	v_fma_f32 v10, v3, v8, -v10
	v_add_f32_e32 v10, 0xb694337e, v10
	v_fma_f32 v8, v3, v10, -v8
	v_add_f32_e32 v8, 0x3789fac6, v8
	v_fma_f32 v10, v3, v8, -v10
	v_add_f32_e32 v10, 0xb8715933, v10
	v_fma_f32 v8, v3, v10, -v8
	v_add_f32_e32 v8, 0x3945a8dc, v8
	v_fma_f32 v10, v3, v8, -v10
	v_add_f32_e32 v10, 0xba1717e9, v10
	v_fma_f32 v8, v3, v10, -v8
	v_add_f32_e32 v8, 0x3ad6e3ac, v8
	v_fma_f32 v10, v3, v8, -v10
	v_add_f32_e32 v10, 0xbb8db2f1, v10
	v_fma_f32 v8, v3, v10, -v8
	v_add_f32_e32 v8, 0x3c2ccb10, v8
	v_fma_f32 v10, v3, v8, -v10
	v_add_f32_e32 v10, 0xbcc274f8, v10
	v_fma_f32 v8, v3, v10, -v8
	v_add_f32_e32 v8, 0x3d49f456, v8
	v_fma_f32 v10, v3, v8, -v10
	v_add_f32_e32 v10, 0xbdc25b82, v10
	v_fma_f32 v8, v3, v10, -v8
	v_add_f32_e32 v8, 0x3e2fbd64, v8
	v_fma_f32 v10, v3, v8, -v10
	v_add_f32_e32 v10, 0xbe9bff5e, v10
	v_fma_f32 v3, v3, v10, -v8
	v_ldexp_f32 v10, v11, v12
	v_add_f32_e32 v3, 0x3f2d4275, v3
	v_cndmask_b32_e32 v10, 0, v10, vcc_lo
	v_cmp_nlt_f32_e64 vcc_lo, 0x42b17218, |v1|
	v_sub_f32_e32 v3, v3, v8
	v_cndmask_b32_e32 v1, 0x7f800000, v10, vcc_lo
	v_mul_f32_e32 v3, 0.5, v3
	v_mul_f32_e32 v3, v1, v3
                                        ; implicit-def: $vgpr1
.LBB18_1423:
	s_andn2_saveexec_b32 s4, s0
	s_cbranch_execz .LBB18_1425
; %bb.1424:
	v_and_b32_e32 v3, 0x7fffffff, v1
	s_mov_b32 s0, 0xa3056dbb
	v_div_scale_f32 v8, null, v3, v3, 0x42000000
	v_div_scale_f32 v3, vcc_lo, 0x42000000, v3, 0x42000000
	v_rcp_f32_e32 v10, v8
	v_fma_f32 v11, -v8, v10, 1.0
	v_fmac_f32_e32 v10, v11, v10
	v_mul_f32_e32 v11, v3, v10
	v_fma_f32 v12, -v8, v11, v3
	v_fmac_f32_e32 v11, v12, v10
	v_mul_f32_e64 v12, 0x3fb8aa3b, |v1|
	v_fma_f32 v3, -v8, v11, v3
	v_rndne_f32_e32 v13, v12
	v_fma_f32 v14, 0x3fb8aa3b, |v1|, -v12
	v_div_fmas_f32 v3, v3, v10, v11
	v_mul_f32_e64 v11, 0x4f800000, |v1|
	v_cmp_gt_f32_e64 vcc_lo, 0xf800000, |v1|
	v_sub_f32_e32 v12, v12, v13
	v_fma_f32 v14, 0x32a5705f, |v1|, v14
	v_div_fixup_f32 v3, v3, |v1|, 0x42000000
	v_cvt_i32_f32_e32 v13, v13
	v_cndmask_b32_e64 v11, |v1|, v11, vcc_lo
	v_add_f32_e32 v12, v12, v14
	v_add_f32_e32 v3, -2.0, v3
	v_sqrt_f32_e32 v15, v11
	v_exp_f32_e32 v12, v12
	v_fmaak_f32 v8, s0, v3, 0xa2b236d3
	v_fmaak_f32 v10, v3, v8, 0x23056dbb
	v_add_nc_u32_e32 v14, -1, v15
	v_add_nc_u32_e32 v16, 1, v15
	v_add_f32_e32 v10, 0x244df0c1, v10
	v_fma_f32 v17, -v14, v15, v11
	v_fma_f32 v18, -v16, v15, v11
	v_fma_f32 v8, v3, v10, -v8
	v_cmp_ge_f32_e64 s0, 0, v17
	v_add_f32_e32 v8, 0x241f9ee8, v8
	v_cndmask_b32_e64 v14, v15, v14, s0
	v_cmp_lt_f32_e64 s0, 0, v18
	v_fma_f32 v10, v3, v8, -v10
	v_add_f32_e32 v10, 0xa5a3005d, v10
	v_fma_f32 v8, v3, v10, -v8
	v_add_f32_e32 v8, 0xa5c5773f, v8
	;; [unrolled: 2-line block ×20, first 2 shown]
	v_fma_f32 v3, v3, v8, -v10
	v_ldexp_f32 v8, v12, v13
	v_cndmask_b32_e64 v12, v14, v16, s0
	v_cmp_ngt_f32_e64 s0, 0xc2ce8ed0, |v1|
	v_add_f32_e32 v3, 0x3f4df315, v3
	v_mul_f32_e32 v13, 0x37800000, v12
	v_cndmask_b32_e64 v8, 0, v8, s0
	v_cmp_nlt_f32_e64 s0, 0x42b17218, |v1|
	v_sub_f32_e32 v3, v3, v10
	v_cndmask_b32_e64 v1, 0x7f800000, v8, s0
	v_cndmask_b32_e32 v8, v12, v13, vcc_lo
	v_mul_f32_e32 v3, 0.5, v3
	v_cmp_class_f32_e64 vcc_lo, v11, 0x260
	v_mul_f32_e32 v1, v1, v3
	v_cndmask_b32_e32 v8, v8, v11, vcc_lo
	v_div_scale_f32 v3, null, v8, v8, v1
	v_rcp_f32_e32 v10, v3
	v_fma_f32 v11, -v3, v10, 1.0
	v_fmac_f32_e32 v10, v11, v10
	v_div_scale_f32 v11, vcc_lo, v1, v8, v1
	v_mul_f32_e32 v12, v11, v10
	v_fma_f32 v13, -v3, v12, v11
	v_fmac_f32_e32 v12, v13, v10
	v_fma_f32 v3, -v3, v12, v11
	v_div_fmas_f32 v3, v3, v10, v12
	v_div_fixup_f32 v3, v3, v8, v1
.LBB18_1425:
	s_or_b32 exec_lo, exec_lo, s4
	v_add_co_u32 v8, s0, s10, v9
	v_add_co_ci_u32_e64 v9, null, s11, 0, s0
	s_cmp_lt_i32 s3, 11
	s_cbranch_scc1 .LBB18_1432
; %bb.1426:
	s_and_b32 s0, 0xffff, s3
	s_mov_b32 s5, 0
	s_cmp_gt_i32 s0, 25
	s_cbranch_scc0 .LBB18_1434
; %bb.1427:
	s_cmp_gt_i32 s0, 28
	s_cbranch_scc0 .LBB18_1435
; %bb.1428:
	;; [unrolled: 3-line block ×4, first 2 shown]
	s_cmp_eq_u32 s0, 46
	s_mov_b32 s7, 0
	s_cbranch_scc0 .LBB18_1439
; %bb.1431:
	global_load_dword v1, v[8:9], off
	s_mov_b32 s4, 0
	s_mov_b32 s6, -1
	s_waitcnt vmcnt(0)
	v_lshlrev_b32_e32 v10, 16, v1
	s_branch .LBB18_1441
.LBB18_1432:
	s_mov_b32 s6, 0
                                        ; implicit-def: $vgpr10
	s_cbranch_execnz .LBB18_1507
.LBB18_1433:
	s_andn2_b32 vcc_lo, exec_lo, s6
	s_cbranch_vccnz .LBB18_1772
	s_branch .LBB18_1555
.LBB18_1434:
	s_mov_b32 s7, -1
	s_mov_b32 s6, 0
	s_mov_b32 s4, 0
                                        ; implicit-def: $vgpr10
	s_branch .LBB18_1470
.LBB18_1435:
	s_mov_b32 s7, -1
	s_mov_b32 s6, 0
	s_mov_b32 s4, 0
                                        ; implicit-def: $vgpr10
	s_branch .LBB18_1451
.LBB18_1436:
	s_mov_b32 s7, -1
	s_mov_b32 s6, 0
	s_mov_b32 s4, 0
                                        ; implicit-def: $vgpr10
	s_branch .LBB18_1446
.LBB18_1437:
	s_or_b32 s1, s1, exec_lo
	s_trap 2
	s_cbranch_execz .LBB18_1372
	s_branch .LBB18_1373
.LBB18_1438:
	s_mov_b32 s7, -1
	s_mov_b32 s6, 0
	s_mov_b32 s4, 0
	s_branch .LBB18_1440
.LBB18_1439:
	s_mov_b32 s4, -1
	s_mov_b32 s6, 0
.LBB18_1440:
                                        ; implicit-def: $vgpr10
.LBB18_1441:
	s_and_b32 vcc_lo, exec_lo, s7
	s_cbranch_vccz .LBB18_1445
; %bb.1442:
	s_cmp_eq_u32 s0, 44
	s_cbranch_scc0 .LBB18_1444
; %bb.1443:
	global_load_ubyte v1, v[8:9], off
	s_mov_b32 s4, 0
	s_mov_b32 s6, -1
	s_waitcnt vmcnt(0)
	v_lshlrev_b32_e32 v10, 23, v1
	v_cmp_ne_u32_e32 vcc_lo, 0xff, v1
	v_cndmask_b32_e32 v10, 0x7f800001, v10, vcc_lo
	v_cmp_ne_u32_e32 vcc_lo, 0, v1
	v_cndmask_b32_e32 v10, 0x400000, v10, vcc_lo
	s_branch .LBB18_1445
.LBB18_1444:
	s_mov_b32 s4, -1
                                        ; implicit-def: $vgpr10
.LBB18_1445:
	s_mov_b32 s7, 0
.LBB18_1446:
	s_and_b32 vcc_lo, exec_lo, s7
	s_cbranch_vccz .LBB18_1450
; %bb.1447:
	s_cmp_eq_u32 s0, 29
	s_cbranch_scc0 .LBB18_1449
; %bb.1448:
	global_load_dwordx2 v[10:11], v[8:9], off
	s_mov_b32 s4, 0
	s_mov_b32 s6, -1
	s_mov_b32 s7, 0
	s_waitcnt vmcnt(0)
	v_ffbh_u32_e32 v1, v11
	v_min_u32_e32 v1, 32, v1
	v_lshlrev_b64 v[10:11], v1, v[10:11]
	v_sub_nc_u32_e32 v1, 32, v1
	v_min_u32_e32 v10, 1, v10
	v_or_b32_e32 v10, v11, v10
	v_cvt_f32_u32_e32 v10, v10
	v_ldexp_f32 v10, v10, v1
	s_branch .LBB18_1451
.LBB18_1449:
	s_mov_b32 s4, -1
                                        ; implicit-def: $vgpr10
.LBB18_1450:
	s_mov_b32 s7, 0
.LBB18_1451:
	s_and_b32 vcc_lo, exec_lo, s7
	s_cbranch_vccz .LBB18_1469
; %bb.1452:
	s_cmp_lt_i32 s0, 27
	s_cbranch_scc1 .LBB18_1455
; %bb.1453:
	s_cmp_gt_i32 s0, 27
	s_cbranch_scc0 .LBB18_1456
; %bb.1454:
	global_load_dword v1, v[8:9], off
	s_mov_b32 s6, 0
	s_waitcnt vmcnt(0)
	v_cvt_f32_u32_e32 v10, v1
	s_branch .LBB18_1457
.LBB18_1455:
	s_mov_b32 s6, -1
                                        ; implicit-def: $vgpr10
	s_branch .LBB18_1460
.LBB18_1456:
	s_mov_b32 s6, -1
                                        ; implicit-def: $vgpr10
.LBB18_1457:
	s_andn2_b32 vcc_lo, exec_lo, s6
	s_cbranch_vccnz .LBB18_1459
; %bb.1458:
	global_load_ushort v1, v[8:9], off
	s_waitcnt vmcnt(0)
	v_cvt_f32_u32_e32 v10, v1
.LBB18_1459:
	s_mov_b32 s6, 0
.LBB18_1460:
	s_andn2_b32 vcc_lo, exec_lo, s6
	s_cbranch_vccnz .LBB18_1468
; %bb.1461:
	global_load_ubyte v1, v[8:9], off
	s_mov_b32 s6, 0
	s_mov_b32 s7, exec_lo
	s_waitcnt vmcnt(0)
	v_cmpx_lt_i16_e32 0x7f, v1
	s_xor_b32 s7, exec_lo, s7
	s_cbranch_execz .LBB18_1482
; %bb.1462:
	s_mov_b32 s6, -1
	s_mov_b32 s14, exec_lo
	v_cmpx_eq_u16_e32 0x80, v1
; %bb.1463:
	s_xor_b32 s6, exec_lo, -1
; %bb.1464:
	s_or_b32 exec_lo, exec_lo, s14
	s_and_b32 s6, s6, exec_lo
	s_or_saveexec_b32 s7, s7
	v_mov_b32_e32 v10, 0x7f800001
	s_xor_b32 exec_lo, exec_lo, s7
	s_cbranch_execnz .LBB18_1483
.LBB18_1465:
	s_or_b32 exec_lo, exec_lo, s7
	s_and_saveexec_b32 s7, s6
	s_cbranch_execz .LBB18_1467
.LBB18_1466:
	v_and_b32_e32 v10, 0xffff, v1
	v_lshlrev_b32_e32 v1, 24, v1
	v_and_b32_e32 v11, 7, v10
	v_bfe_u32 v14, v10, 3, 4
	v_and_b32_e32 v1, 0x80000000, v1
	v_ffbh_u32_e32 v12, v11
	v_cmp_eq_u32_e32 vcc_lo, 0, v14
	v_min_u32_e32 v12, 32, v12
	v_subrev_nc_u32_e32 v13, 28, v12
	v_sub_nc_u32_e32 v12, 29, v12
	v_lshlrev_b32_e32 v10, v13, v10
	v_cndmask_b32_e32 v12, v14, v12, vcc_lo
	v_and_b32_e32 v10, 7, v10
	v_cndmask_b32_e32 v10, v11, v10, vcc_lo
	v_lshl_add_u32 v11, v12, 23, 0x3b800000
	v_lshlrev_b32_e32 v10, 20, v10
	v_or3_b32 v10, v1, v11, v10
.LBB18_1467:
	s_or_b32 exec_lo, exec_lo, s7
.LBB18_1468:
	s_mov_b32 s6, -1
.LBB18_1469:
	s_mov_b32 s7, 0
.LBB18_1470:
	s_and_b32 vcc_lo, exec_lo, s7
	s_cbranch_vccz .LBB18_1503
; %bb.1471:
	s_cmp_gt_i32 s0, 22
	s_cbranch_scc0 .LBB18_1481
; %bb.1472:
	s_cmp_lt_i32 s0, 24
	s_cbranch_scc1 .LBB18_1484
; %bb.1473:
	s_cmp_gt_i32 s0, 24
	s_cbranch_scc0 .LBB18_1485
; %bb.1474:
	global_load_ubyte v1, v[8:9], off
	s_mov_b32 s6, exec_lo
	s_waitcnt vmcnt(0)
	v_cmpx_lt_i16_e32 0x7f, v1
	s_xor_b32 s6, exec_lo, s6
	s_cbranch_execz .LBB18_1497
; %bb.1475:
	s_mov_b32 s5, -1
	s_mov_b32 s7, exec_lo
	v_cmpx_eq_u16_e32 0x80, v1
; %bb.1476:
	s_xor_b32 s5, exec_lo, -1
; %bb.1477:
	s_or_b32 exec_lo, exec_lo, s7
	s_and_b32 s5, s5, exec_lo
	s_or_saveexec_b32 s6, s6
	v_mov_b32_e32 v10, 0x7f800001
	s_xor_b32 exec_lo, exec_lo, s6
	s_cbranch_execnz .LBB18_1498
.LBB18_1478:
	s_or_b32 exec_lo, exec_lo, s6
	s_and_saveexec_b32 s6, s5
	s_cbranch_execz .LBB18_1480
.LBB18_1479:
	v_and_b32_e32 v10, 0xffff, v1
	v_lshlrev_b32_e32 v1, 24, v1
	v_and_b32_e32 v11, 3, v10
	v_bfe_u32 v14, v10, 2, 5
	v_and_b32_e32 v1, 0x80000000, v1
	v_ffbh_u32_e32 v12, v11
	v_cmp_eq_u32_e32 vcc_lo, 0, v14
	v_min_u32_e32 v12, 32, v12
	v_subrev_nc_u32_e32 v13, 29, v12
	v_sub_nc_u32_e32 v12, 30, v12
	v_lshlrev_b32_e32 v10, v13, v10
	v_cndmask_b32_e32 v12, v14, v12, vcc_lo
	v_and_b32_e32 v10, 3, v10
	v_cndmask_b32_e32 v10, v11, v10, vcc_lo
	v_lshl_add_u32 v11, v12, 23, 0x37800000
	v_lshlrev_b32_e32 v10, 21, v10
	v_or3_b32 v10, v1, v11, v10
.LBB18_1480:
	s_or_b32 exec_lo, exec_lo, s6
	s_mov_b32 s5, 0
	s_branch .LBB18_1486
.LBB18_1481:
	s_mov_b32 s5, -1
                                        ; implicit-def: $vgpr10
	s_branch .LBB18_1492
.LBB18_1482:
	s_or_saveexec_b32 s7, s7
	v_mov_b32_e32 v10, 0x7f800001
	s_xor_b32 exec_lo, exec_lo, s7
	s_cbranch_execz .LBB18_1465
.LBB18_1483:
	v_cmp_ne_u16_e32 vcc_lo, 0, v1
	v_mov_b32_e32 v10, 0
	s_andn2_b32 s6, s6, exec_lo
	s_and_b32 s14, vcc_lo, exec_lo
	s_or_b32 s6, s6, s14
	s_or_b32 exec_lo, exec_lo, s7
	s_and_saveexec_b32 s7, s6
	s_cbranch_execnz .LBB18_1466
	s_branch .LBB18_1467
.LBB18_1484:
	s_mov_b32 s5, -1
                                        ; implicit-def: $vgpr10
	s_branch .LBB18_1489
.LBB18_1485:
	s_mov_b32 s5, -1
                                        ; implicit-def: $vgpr10
.LBB18_1486:
	s_and_b32 vcc_lo, exec_lo, s5
	s_cbranch_vccz .LBB18_1488
; %bb.1487:
	global_load_ubyte v1, v[8:9], off
	s_waitcnt vmcnt(0)
	v_lshlrev_b32_e32 v1, 24, v1
	v_and_b32_e32 v10, 0x7f000000, v1
	v_ffbh_u32_e32 v11, v10
	v_add_nc_u32_e32 v13, 0x1000000, v10
	v_cmp_ne_u32_e32 vcc_lo, 0, v10
	v_min_u32_e32 v11, 32, v11
	v_sub_nc_u32_e64 v11, v11, 4 clamp
	v_lshlrev_b32_e32 v12, v11, v10
	v_lshlrev_b32_e32 v11, 23, v11
	v_lshrrev_b32_e32 v12, 4, v12
	v_sub_nc_u32_e32 v11, v12, v11
	v_ashrrev_i32_e32 v12, 8, v13
	v_add_nc_u32_e32 v11, 0x3c000000, v11
	v_and_or_b32 v11, 0x7f800000, v12, v11
	v_cndmask_b32_e32 v10, 0, v11, vcc_lo
	v_and_or_b32 v10, 0x80000000, v1, v10
.LBB18_1488:
	s_mov_b32 s5, 0
.LBB18_1489:
	s_andn2_b32 vcc_lo, exec_lo, s5
	s_cbranch_vccnz .LBB18_1491
; %bb.1490:
	global_load_ubyte v1, v[8:9], off
	s_waitcnt vmcnt(0)
	v_lshlrev_b32_e32 v10, 25, v1
	v_lshlrev_b16 v1, 8, v1
	v_lshrrev_b32_e32 v11, 4, v10
	v_and_or_b32 v12, 0x7f00, v1, 0.5
	v_cmp_gt_u32_e32 vcc_lo, 0x8000000, v10
	v_bfe_i32 v1, v1, 0, 16
	v_or_b32_e32 v11, 0x70000000, v11
	v_add_f32_e32 v12, -0.5, v12
	v_mul_f32_e32 v11, 0x7800000, v11
	v_cndmask_b32_e32 v10, v11, v12, vcc_lo
	v_and_or_b32 v10, 0x80000000, v1, v10
.LBB18_1491:
	s_mov_b32 s5, 0
	s_mov_b32 s6, -1
.LBB18_1492:
	s_andn2_b32 vcc_lo, exec_lo, s5
	s_mov_b32 s5, 0
	s_cbranch_vccnz .LBB18_1503
; %bb.1493:
	s_cmp_gt_i32 s0, 14
	s_cbranch_scc0 .LBB18_1496
; %bb.1494:
	s_cmp_eq_u32 s0, 15
	s_cbranch_scc0 .LBB18_1499
; %bb.1495:
	global_load_ushort v1, v[8:9], off
	s_mov_b32 s4, 0
	s_mov_b32 s6, -1
	s_waitcnt vmcnt(0)
	v_lshlrev_b32_e32 v10, 16, v1
	s_branch .LBB18_1501
.LBB18_1496:
	s_mov_b32 s5, -1
	s_branch .LBB18_1500
.LBB18_1497:
	s_or_saveexec_b32 s6, s6
	v_mov_b32_e32 v10, 0x7f800001
	s_xor_b32 exec_lo, exec_lo, s6
	s_cbranch_execz .LBB18_1478
.LBB18_1498:
	v_cmp_ne_u16_e32 vcc_lo, 0, v1
	v_mov_b32_e32 v10, 0
	s_andn2_b32 s5, s5, exec_lo
	s_and_b32 s7, vcc_lo, exec_lo
	s_or_b32 s5, s5, s7
	s_or_b32 exec_lo, exec_lo, s6
	s_and_saveexec_b32 s6, s5
	s_cbranch_execnz .LBB18_1479
	s_branch .LBB18_1480
.LBB18_1499:
	s_mov_b32 s4, -1
.LBB18_1500:
                                        ; implicit-def: $vgpr10
.LBB18_1501:
	s_and_b32 vcc_lo, exec_lo, s5
	s_mov_b32 s5, 0
	s_cbranch_vccz .LBB18_1503
; %bb.1502:
	s_cmp_lg_u32 s0, 11
	s_mov_b32 s5, -1
	s_cselect_b32 s4, -1, 0
.LBB18_1503:
	s_and_b32 vcc_lo, exec_lo, s4
	s_cbranch_vccnz .LBB18_1570
; %bb.1504:
	s_andn2_b32 vcc_lo, exec_lo, s5
	s_cbranch_vccnz .LBB18_1506
.LBB18_1505:
	global_load_ubyte v1, v[8:9], off
	s_mov_b32 s6, -1
	s_waitcnt vmcnt(0)
	v_cmp_ne_u16_e32 vcc_lo, 0, v1
	v_cndmask_b32_e64 v10, 0, 1.0, vcc_lo
.LBB18_1506:
	s_branch .LBB18_1433
.LBB18_1507:
	s_and_b32 s0, 0xffff, s3
	s_cmp_lt_i32 s0, 5
	s_cbranch_scc1 .LBB18_1512
; %bb.1508:
	s_cmp_lt_i32 s0, 8
	s_cbranch_scc1 .LBB18_1513
; %bb.1509:
	s_cmp_lt_i32 s0, 9
	s_cbranch_scc1 .LBB18_1514
; %bb.1510:
	s_cmp_gt_i32 s0, 9
	s_cbranch_scc0 .LBB18_1515
; %bb.1511:
	global_load_dwordx2 v[10:11], v[8:9], off
	s_mov_b32 s4, 0
	s_waitcnt vmcnt(0)
	v_cvt_f32_f64_e32 v10, v[10:11]
	s_branch .LBB18_1516
.LBB18_1512:
	s_mov_b32 s4, -1
                                        ; implicit-def: $vgpr10
	s_branch .LBB18_1534
.LBB18_1513:
	s_mov_b32 s4, -1
                                        ; implicit-def: $vgpr10
	s_branch .LBB18_1522
.LBB18_1514:
	s_mov_b32 s4, -1
                                        ; implicit-def: $vgpr10
	s_branch .LBB18_1519
.LBB18_1515:
	s_mov_b32 s4, -1
                                        ; implicit-def: $vgpr10
.LBB18_1516:
	s_andn2_b32 vcc_lo, exec_lo, s4
	s_cbranch_vccnz .LBB18_1518
; %bb.1517:
	global_load_dword v10, v[8:9], off
.LBB18_1518:
	s_mov_b32 s4, 0
.LBB18_1519:
	s_andn2_b32 vcc_lo, exec_lo, s4
	s_cbranch_vccnz .LBB18_1521
; %bb.1520:
	global_load_dword v1, v[8:9], off
	s_waitcnt vmcnt(0)
	v_cvt_f32_f16_e32 v10, v1
.LBB18_1521:
	s_mov_b32 s4, 0
.LBB18_1522:
	s_andn2_b32 vcc_lo, exec_lo, s4
	s_cbranch_vccnz .LBB18_1533
; %bb.1523:
	s_cmp_lt_i32 s0, 6
	s_cbranch_scc1 .LBB18_1526
; %bb.1524:
	s_cmp_gt_i32 s0, 6
	s_cbranch_scc0 .LBB18_1527
; %bb.1525:
	global_load_dwordx2 v[10:11], v[8:9], off
	s_mov_b32 s4, 0
	s_waitcnt vmcnt(0)
	v_cvt_f32_f64_e32 v10, v[10:11]
	s_branch .LBB18_1528
.LBB18_1526:
	s_mov_b32 s4, -1
                                        ; implicit-def: $vgpr10
	s_branch .LBB18_1531
.LBB18_1527:
	s_mov_b32 s4, -1
                                        ; implicit-def: $vgpr10
.LBB18_1528:
	s_andn2_b32 vcc_lo, exec_lo, s4
	s_cbranch_vccnz .LBB18_1530
; %bb.1529:
	global_load_dword v10, v[8:9], off
.LBB18_1530:
	s_mov_b32 s4, 0
.LBB18_1531:
	s_andn2_b32 vcc_lo, exec_lo, s4
	s_cbranch_vccnz .LBB18_1533
; %bb.1532:
	global_load_ushort v1, v[8:9], off
	s_waitcnt vmcnt(0)
	v_cvt_f32_f16_e32 v10, v1
.LBB18_1533:
	s_mov_b32 s4, 0
.LBB18_1534:
	s_andn2_b32 vcc_lo, exec_lo, s4
	s_cbranch_vccnz .LBB18_1554
; %bb.1535:
	s_cmp_lt_i32 s0, 2
	s_cbranch_scc1 .LBB18_1539
; %bb.1536:
	s_cmp_lt_i32 s0, 3
	s_cbranch_scc1 .LBB18_1540
; %bb.1537:
	s_cmp_gt_i32 s0, 3
	s_cbranch_scc0 .LBB18_1541
; %bb.1538:
	global_load_dwordx2 v[10:11], v[8:9], off
	s_mov_b32 s4, 0
	s_waitcnt vmcnt(0)
	v_xor_b32_e32 v1, v10, v11
	v_ffbh_i32_e32 v12, v11
	v_ashrrev_i32_e32 v1, 31, v1
	v_add_nc_u32_e32 v12, -1, v12
	v_add_nc_u32_e32 v1, 32, v1
	v_min_u32_e32 v1, v12, v1
	v_lshlrev_b64 v[10:11], v1, v[10:11]
	v_sub_nc_u32_e32 v1, 32, v1
	v_min_u32_e32 v10, 1, v10
	v_or_b32_e32 v10, v11, v10
	v_cvt_f32_i32_e32 v10, v10
	v_ldexp_f32 v10, v10, v1
	s_branch .LBB18_1542
.LBB18_1539:
	s_mov_b32 s4, -1
                                        ; implicit-def: $vgpr10
	s_branch .LBB18_1548
.LBB18_1540:
	s_mov_b32 s4, -1
                                        ; implicit-def: $vgpr10
	s_branch .LBB18_1545
.LBB18_1541:
	s_mov_b32 s4, -1
                                        ; implicit-def: $vgpr10
.LBB18_1542:
	s_andn2_b32 vcc_lo, exec_lo, s4
	s_cbranch_vccnz .LBB18_1544
; %bb.1543:
	global_load_dword v1, v[8:9], off
	s_waitcnt vmcnt(0)
	v_cvt_f32_i32_e32 v10, v1
.LBB18_1544:
	s_mov_b32 s4, 0
.LBB18_1545:
	s_andn2_b32 vcc_lo, exec_lo, s4
	s_cbranch_vccnz .LBB18_1547
; %bb.1546:
	global_load_sshort v1, v[8:9], off
	s_waitcnt vmcnt(0)
	v_cvt_f32_i32_e32 v10, v1
.LBB18_1547:
	s_mov_b32 s4, 0
.LBB18_1548:
	s_andn2_b32 vcc_lo, exec_lo, s4
	s_cbranch_vccnz .LBB18_1554
; %bb.1549:
	s_cmp_gt_i32 s0, 0
	s_mov_b32 s0, 0
	s_cbranch_scc0 .LBB18_1551
; %bb.1550:
	global_load_sbyte v1, v[8:9], off
	s_waitcnt vmcnt(0)
	v_cvt_f32_i32_e32 v10, v1
	s_branch .LBB18_1552
.LBB18_1551:
	s_mov_b32 s0, -1
                                        ; implicit-def: $vgpr10
.LBB18_1552:
	s_andn2_b32 vcc_lo, exec_lo, s0
	s_cbranch_vccnz .LBB18_1554
; %bb.1553:
	global_load_ubyte v1, v[8:9], off
	s_waitcnt vmcnt(0)
	v_cvt_f32_ubyte0_e32 v10, v1
.LBB18_1554:
.LBB18_1555:
	s_waitcnt vmcnt(0)
	v_cmp_ge_f32_e64 s0, 0x41000000, |v10|
                                        ; implicit-def: $vgpr1
	s_and_saveexec_b32 s4, s0
	s_xor_b32 s0, exec_lo, s4
	s_cbranch_execz .LBB18_1557
; %bb.1556:
	v_fma_f32 v1, |v10|, 0.5, -2.0
	s_mov_b32 s4, 0xa2a2e5b9
	v_mul_f32_e64 v11, 0x3fb8aa3b, |v10|
	v_cmp_ngt_f32_e64 vcc_lo, 0xc2ce8ed0, |v10|
	v_fmaak_f32 v8, s4, v1, 0x24199b15
	v_rndne_f32_e32 v12, v11
	v_fma_f32 v13, 0x3fb8aa3b, |v10|, -v11
	v_fmaak_f32 v9, v1, v8, 0x22a2e5b9
	v_sub_f32_e32 v11, v11, v12
	v_fma_f32 v13, 0x32a5705f, |v10|, v13
	v_cvt_i32_f32_e32 v12, v12
	v_add_f32_e32 v9, 0xa58c275c, v9
	v_add_f32_e32 v11, v11, v13
	v_fma_f32 v8, v1, v9, -v8
	v_exp_f32_e32 v11, v11
	v_add_f32_e32 v8, 0x26f736c5, v8
	v_fma_f32 v9, v1, v8, -v9
	v_add_f32_e32 v9, 0xa8528116, v9
	v_fma_f32 v8, v1, v9, -v8
	;; [unrolled: 2-line block ×26, first 2 shown]
	v_ldexp_f32 v9, v11, v12
	v_add_f32_e32 v1, 0x3f2d4275, v1
	v_cndmask_b32_e32 v9, 0, v9, vcc_lo
	v_cmp_nlt_f32_e64 vcc_lo, 0x42b17218, |v10|
                                        ; implicit-def: $vgpr10
	v_sub_f32_e32 v1, v1, v8
	v_cndmask_b32_e32 v8, 0x7f800000, v9, vcc_lo
	v_mul_f32_e32 v1, 0.5, v1
	v_mul_f32_e32 v1, v8, v1
.LBB18_1557:
	s_andn2_saveexec_b32 s4, s0
	s_cbranch_execz .LBB18_1559
; %bb.1558:
	v_and_b32_e32 v1, 0x7fffffff, v10
	s_mov_b32 s0, 0xa3056dbb
	v_div_scale_f32 v8, null, v1, v1, 0x42000000
	v_div_scale_f32 v1, vcc_lo, 0x42000000, v1, 0x42000000
	v_rcp_f32_e32 v9, v8
	v_fma_f32 v11, -v8, v9, 1.0
	v_fmac_f32_e32 v9, v11, v9
	v_mul_f32_e32 v11, v1, v9
	v_fma_f32 v12, -v8, v11, v1
	v_fmac_f32_e32 v11, v12, v9
	v_mul_f32_e64 v12, 0x3fb8aa3b, |v10|
	v_fma_f32 v1, -v8, v11, v1
	v_rndne_f32_e32 v13, v12
	v_fma_f32 v14, 0x3fb8aa3b, |v10|, -v12
	v_div_fmas_f32 v1, v1, v9, v11
	v_mul_f32_e64 v11, 0x4f800000, |v10|
	v_cmp_gt_f32_e64 vcc_lo, 0xf800000, |v10|
	v_sub_f32_e32 v12, v12, v13
	v_fma_f32 v14, 0x32a5705f, |v10|, v14
	v_div_fixup_f32 v1, v1, |v10|, 0x42000000
	v_cvt_i32_f32_e32 v13, v13
	v_cndmask_b32_e64 v11, |v10|, v11, vcc_lo
	v_add_f32_e32 v12, v12, v14
	v_add_f32_e32 v1, -2.0, v1
	v_sqrt_f32_e32 v15, v11
	v_exp_f32_e32 v12, v12
	v_fmaak_f32 v8, s0, v1, 0xa2b236d3
	v_fmaak_f32 v9, v1, v8, 0x23056dbb
	v_add_nc_u32_e32 v14, -1, v15
	v_add_nc_u32_e32 v16, 1, v15
	v_add_f32_e32 v9, 0x244df0c1, v9
	v_fma_f32 v17, -v14, v15, v11
	v_fma_f32 v18, -v16, v15, v11
	v_fma_f32 v8, v1, v9, -v8
	v_cmp_ge_f32_e64 s0, 0, v17
	v_add_f32_e32 v8, 0x241f9ee8, v8
	v_cndmask_b32_e64 v14, v15, v14, s0
	v_cmp_lt_f32_e64 s0, 0, v18
	v_fma_f32 v9, v1, v8, -v9
	v_add_f32_e32 v9, 0xa5a3005d, v9
	v_fma_f32 v8, v1, v9, -v8
	v_add_f32_e32 v8, 0xa5c5773f, v8
	;; [unrolled: 2-line block ×20, first 2 shown]
	v_fma_f32 v1, v1, v8, -v9
	v_ldexp_f32 v8, v12, v13
	v_cndmask_b32_e64 v12, v14, v16, s0
	v_cmp_ngt_f32_e64 s0, 0xc2ce8ed0, |v10|
	v_add_f32_e32 v1, 0x3f4df315, v1
	v_mul_f32_e32 v13, 0x37800000, v12
	v_cndmask_b32_e64 v8, 0, v8, s0
	v_cmp_nlt_f32_e64 s0, 0x42b17218, |v10|
	v_sub_f32_e32 v1, v1, v9
	v_cndmask_b32_e32 v9, v12, v13, vcc_lo
	v_cmp_class_f32_e64 vcc_lo, v11, 0x260
	v_cndmask_b32_e64 v8, 0x7f800000, v8, s0
	v_mul_f32_e32 v1, 0.5, v1
	v_cndmask_b32_e32 v9, v9, v11, vcc_lo
	v_mul_f32_e32 v1, v8, v1
	v_div_scale_f32 v8, null, v9, v9, v1
	v_rcp_f32_e32 v10, v8
	v_fma_f32 v11, -v8, v10, 1.0
	v_fmac_f32_e32 v10, v11, v10
	v_div_scale_f32 v11, vcc_lo, v1, v9, v1
	v_mul_f32_e32 v12, v11, v10
	v_fma_f32 v13, -v8, v12, v11
	v_fmac_f32_e32 v12, v13, v10
	v_fma_f32 v8, -v8, v12, v11
	v_div_fmas_f32 v8, v8, v10, v12
	v_div_fixup_f32 v1, v8, v9, v1
.LBB18_1559:
	s_or_b32 exec_lo, exec_lo, s4
	v_add_co_u32 v7, s0, s10, v7
	v_add_co_ci_u32_e64 v8, null, s11, 0, s0
	s_cmp_lt_i32 s3, 11
	s_cbranch_scc1 .LBB18_1566
; %bb.1560:
	s_and_b32 s0, 0xffff, s3
	s_mov_b32 s5, 0
	s_cmp_gt_i32 s0, 25
	s_cbranch_scc0 .LBB18_1567
; %bb.1561:
	s_cmp_gt_i32 s0, 28
	s_cbranch_scc0 .LBB18_1568
; %bb.1562:
	;; [unrolled: 3-line block ×4, first 2 shown]
	s_cmp_eq_u32 s0, 46
	s_mov_b32 s7, 0
	s_cbranch_scc0 .LBB18_1572
; %bb.1565:
	global_load_dword v9, v[7:8], off
	s_mov_b32 s4, 0
	s_mov_b32 s6, -1
	s_waitcnt vmcnt(0)
	v_lshlrev_b32_e32 v9, 16, v9
	s_branch .LBB18_1574
.LBB18_1566:
	s_mov_b32 s0, -1
	s_mov_b32 s6, 0
                                        ; implicit-def: $vgpr9
	s_branch .LBB18_1640
.LBB18_1567:
	s_mov_b32 s7, -1
	s_mov_b32 s6, 0
	s_mov_b32 s4, 0
                                        ; implicit-def: $vgpr9
	s_branch .LBB18_1603
.LBB18_1568:
	s_mov_b32 s7, -1
	s_mov_b32 s6, 0
	s_mov_b32 s4, 0
                                        ; implicit-def: $vgpr9
	s_branch .LBB18_1584
.LBB18_1569:
	s_mov_b32 s7, -1
	s_mov_b32 s6, 0
	s_mov_b32 s4, 0
                                        ; implicit-def: $vgpr9
	s_branch .LBB18_1579
.LBB18_1570:
	s_or_b32 s1, s1, exec_lo
	s_trap 2
	s_cbranch_execz .LBB18_1505
	s_branch .LBB18_1506
.LBB18_1571:
	s_mov_b32 s7, -1
	s_mov_b32 s6, 0
	s_mov_b32 s4, 0
	s_branch .LBB18_1573
.LBB18_1572:
	s_mov_b32 s4, -1
	s_mov_b32 s6, 0
.LBB18_1573:
                                        ; implicit-def: $vgpr9
.LBB18_1574:
	s_and_b32 vcc_lo, exec_lo, s7
	s_cbranch_vccz .LBB18_1578
; %bb.1575:
	s_cmp_eq_u32 s0, 44
	s_cbranch_scc0 .LBB18_1577
; %bb.1576:
	global_load_ubyte v9, v[7:8], off
	s_mov_b32 s4, 0
	s_mov_b32 s6, -1
	s_waitcnt vmcnt(0)
	v_lshlrev_b32_e32 v10, 23, v9
	v_cmp_ne_u32_e32 vcc_lo, 0xff, v9
	v_cndmask_b32_e32 v10, 0x7f800001, v10, vcc_lo
	v_cmp_ne_u32_e32 vcc_lo, 0, v9
	v_cndmask_b32_e32 v9, 0x400000, v10, vcc_lo
	s_branch .LBB18_1578
.LBB18_1577:
	s_mov_b32 s4, -1
                                        ; implicit-def: $vgpr9
.LBB18_1578:
	s_mov_b32 s7, 0
.LBB18_1579:
	s_and_b32 vcc_lo, exec_lo, s7
	s_cbranch_vccz .LBB18_1583
; %bb.1580:
	s_cmp_eq_u32 s0, 29
	s_cbranch_scc0 .LBB18_1582
; %bb.1581:
	global_load_dwordx2 v[9:10], v[7:8], off
	s_mov_b32 s4, 0
	s_mov_b32 s6, -1
	s_mov_b32 s7, 0
	s_waitcnt vmcnt(0)
	v_ffbh_u32_e32 v11, v10
	v_min_u32_e32 v11, 32, v11
	v_lshlrev_b64 v[9:10], v11, v[9:10]
	v_min_u32_e32 v9, 1, v9
	v_or_b32_e32 v9, v10, v9
	v_sub_nc_u32_e32 v10, 32, v11
	v_cvt_f32_u32_e32 v9, v9
	v_ldexp_f32 v9, v9, v10
	s_branch .LBB18_1584
.LBB18_1582:
	s_mov_b32 s4, -1
                                        ; implicit-def: $vgpr9
.LBB18_1583:
	s_mov_b32 s7, 0
.LBB18_1584:
	s_and_b32 vcc_lo, exec_lo, s7
	s_cbranch_vccz .LBB18_1602
; %bb.1585:
	s_cmp_lt_i32 s0, 27
	s_cbranch_scc1 .LBB18_1588
; %bb.1586:
	s_cmp_gt_i32 s0, 27
	s_cbranch_scc0 .LBB18_1589
; %bb.1587:
	global_load_dword v9, v[7:8], off
	s_mov_b32 s6, 0
	s_waitcnt vmcnt(0)
	v_cvt_f32_u32_e32 v9, v9
	s_branch .LBB18_1590
.LBB18_1588:
	s_mov_b32 s6, -1
                                        ; implicit-def: $vgpr9
	s_branch .LBB18_1593
.LBB18_1589:
	s_mov_b32 s6, -1
                                        ; implicit-def: $vgpr9
.LBB18_1590:
	s_andn2_b32 vcc_lo, exec_lo, s6
	s_cbranch_vccnz .LBB18_1592
; %bb.1591:
	global_load_ushort v9, v[7:8], off
	s_waitcnt vmcnt(0)
	v_cvt_f32_u32_e32 v9, v9
.LBB18_1592:
	s_mov_b32 s6, 0
.LBB18_1593:
	s_andn2_b32 vcc_lo, exec_lo, s6
	s_cbranch_vccnz .LBB18_1601
; %bb.1594:
	global_load_ubyte v10, v[7:8], off
	s_mov_b32 s6, 0
	s_mov_b32 s7, exec_lo
	s_waitcnt vmcnt(0)
	v_cmpx_lt_i16_e32 0x7f, v10
	s_xor_b32 s7, exec_lo, s7
	s_cbranch_execz .LBB18_1615
; %bb.1595:
	s_mov_b32 s6, -1
	s_mov_b32 s10, exec_lo
	v_cmpx_eq_u16_e32 0x80, v10
; %bb.1596:
	s_xor_b32 s6, exec_lo, -1
; %bb.1597:
	s_or_b32 exec_lo, exec_lo, s10
	s_and_b32 s6, s6, exec_lo
	s_or_saveexec_b32 s7, s7
	v_mov_b32_e32 v9, 0x7f800001
	s_xor_b32 exec_lo, exec_lo, s7
	s_cbranch_execnz .LBB18_1616
.LBB18_1598:
	s_or_b32 exec_lo, exec_lo, s7
	s_and_saveexec_b32 s7, s6
	s_cbranch_execz .LBB18_1600
.LBB18_1599:
	v_and_b32_e32 v9, 0xffff, v10
	v_lshlrev_b32_e32 v10, 24, v10
	v_and_b32_e32 v11, 7, v9
	v_bfe_u32 v14, v9, 3, 4
	v_and_b32_e32 v10, 0x80000000, v10
	v_ffbh_u32_e32 v12, v11
	v_cmp_eq_u32_e32 vcc_lo, 0, v14
	v_min_u32_e32 v12, 32, v12
	v_subrev_nc_u32_e32 v13, 28, v12
	v_sub_nc_u32_e32 v12, 29, v12
	v_lshlrev_b32_e32 v9, v13, v9
	v_cndmask_b32_e32 v12, v14, v12, vcc_lo
	v_and_b32_e32 v9, 7, v9
	v_cndmask_b32_e32 v9, v11, v9, vcc_lo
	v_lshl_add_u32 v11, v12, 23, 0x3b800000
	v_lshlrev_b32_e32 v9, 20, v9
	v_or3_b32 v9, v10, v11, v9
.LBB18_1600:
	s_or_b32 exec_lo, exec_lo, s7
.LBB18_1601:
	s_mov_b32 s6, -1
.LBB18_1602:
	s_mov_b32 s7, 0
.LBB18_1603:
	s_and_b32 vcc_lo, exec_lo, s7
	s_cbranch_vccz .LBB18_1636
; %bb.1604:
	s_cmp_gt_i32 s0, 22
	s_cbranch_scc0 .LBB18_1614
; %bb.1605:
	s_cmp_lt_i32 s0, 24
	s_cbranch_scc1 .LBB18_1617
; %bb.1606:
	s_cmp_gt_i32 s0, 24
	s_cbranch_scc0 .LBB18_1618
; %bb.1607:
	global_load_ubyte v10, v[7:8], off
	s_mov_b32 s6, exec_lo
	s_waitcnt vmcnt(0)
	v_cmpx_lt_i16_e32 0x7f, v10
	s_xor_b32 s6, exec_lo, s6
	s_cbranch_execz .LBB18_1630
; %bb.1608:
	s_mov_b32 s5, -1
	s_mov_b32 s7, exec_lo
	v_cmpx_eq_u16_e32 0x80, v10
; %bb.1609:
	s_xor_b32 s5, exec_lo, -1
; %bb.1610:
	s_or_b32 exec_lo, exec_lo, s7
	s_and_b32 s5, s5, exec_lo
	s_or_saveexec_b32 s6, s6
	v_mov_b32_e32 v9, 0x7f800001
	s_xor_b32 exec_lo, exec_lo, s6
	s_cbranch_execnz .LBB18_1631
.LBB18_1611:
	s_or_b32 exec_lo, exec_lo, s6
	s_and_saveexec_b32 s6, s5
	s_cbranch_execz .LBB18_1613
.LBB18_1612:
	v_and_b32_e32 v9, 0xffff, v10
	v_lshlrev_b32_e32 v10, 24, v10
	v_and_b32_e32 v11, 3, v9
	v_bfe_u32 v14, v9, 2, 5
	v_and_b32_e32 v10, 0x80000000, v10
	v_ffbh_u32_e32 v12, v11
	v_cmp_eq_u32_e32 vcc_lo, 0, v14
	v_min_u32_e32 v12, 32, v12
	v_subrev_nc_u32_e32 v13, 29, v12
	v_sub_nc_u32_e32 v12, 30, v12
	v_lshlrev_b32_e32 v9, v13, v9
	v_cndmask_b32_e32 v12, v14, v12, vcc_lo
	v_and_b32_e32 v9, 3, v9
	v_cndmask_b32_e32 v9, v11, v9, vcc_lo
	v_lshl_add_u32 v11, v12, 23, 0x37800000
	v_lshlrev_b32_e32 v9, 21, v9
	v_or3_b32 v9, v10, v11, v9
.LBB18_1613:
	s_or_b32 exec_lo, exec_lo, s6
	s_mov_b32 s5, 0
	s_branch .LBB18_1619
.LBB18_1614:
	s_mov_b32 s5, -1
                                        ; implicit-def: $vgpr9
	s_branch .LBB18_1625
.LBB18_1615:
	s_or_saveexec_b32 s7, s7
	v_mov_b32_e32 v9, 0x7f800001
	s_xor_b32 exec_lo, exec_lo, s7
	s_cbranch_execz .LBB18_1598
.LBB18_1616:
	v_cmp_ne_u16_e32 vcc_lo, 0, v10
	v_mov_b32_e32 v9, 0
	s_andn2_b32 s6, s6, exec_lo
	s_and_b32 s10, vcc_lo, exec_lo
	s_or_b32 s6, s6, s10
	s_or_b32 exec_lo, exec_lo, s7
	s_and_saveexec_b32 s7, s6
	s_cbranch_execnz .LBB18_1599
	s_branch .LBB18_1600
.LBB18_1617:
	s_mov_b32 s5, -1
                                        ; implicit-def: $vgpr9
	s_branch .LBB18_1622
.LBB18_1618:
	s_mov_b32 s5, -1
                                        ; implicit-def: $vgpr9
.LBB18_1619:
	s_and_b32 vcc_lo, exec_lo, s5
	s_cbranch_vccz .LBB18_1621
; %bb.1620:
	global_load_ubyte v9, v[7:8], off
	s_waitcnt vmcnt(0)
	v_lshlrev_b32_e32 v9, 24, v9
	v_and_b32_e32 v10, 0x7f000000, v9
	v_ffbh_u32_e32 v11, v10
	v_add_nc_u32_e32 v13, 0x1000000, v10
	v_cmp_ne_u32_e32 vcc_lo, 0, v10
	v_min_u32_e32 v11, 32, v11
	v_sub_nc_u32_e64 v11, v11, 4 clamp
	v_lshlrev_b32_e32 v12, v11, v10
	v_lshlrev_b32_e32 v11, 23, v11
	v_lshrrev_b32_e32 v12, 4, v12
	v_sub_nc_u32_e32 v11, v12, v11
	v_ashrrev_i32_e32 v12, 8, v13
	v_add_nc_u32_e32 v11, 0x3c000000, v11
	v_and_or_b32 v11, 0x7f800000, v12, v11
	v_cndmask_b32_e32 v10, 0, v11, vcc_lo
	v_and_or_b32 v9, 0x80000000, v9, v10
.LBB18_1621:
	s_mov_b32 s5, 0
.LBB18_1622:
	s_andn2_b32 vcc_lo, exec_lo, s5
	s_cbranch_vccnz .LBB18_1624
; %bb.1623:
	global_load_ubyte v9, v[7:8], off
	s_waitcnt vmcnt(0)
	v_lshlrev_b32_e32 v10, 25, v9
	v_lshlrev_b16 v9, 8, v9
	v_lshrrev_b32_e32 v11, 4, v10
	v_and_or_b32 v12, 0x7f00, v9, 0.5
	v_cmp_gt_u32_e32 vcc_lo, 0x8000000, v10
	v_bfe_i32 v9, v9, 0, 16
	v_or_b32_e32 v11, 0x70000000, v11
	v_add_f32_e32 v12, -0.5, v12
	v_mul_f32_e32 v11, 0x7800000, v11
	v_cndmask_b32_e32 v10, v11, v12, vcc_lo
	v_and_or_b32 v9, 0x80000000, v9, v10
.LBB18_1624:
	s_mov_b32 s5, 0
	s_mov_b32 s6, -1
.LBB18_1625:
	s_andn2_b32 vcc_lo, exec_lo, s5
	s_mov_b32 s5, 0
	s_cbranch_vccnz .LBB18_1636
; %bb.1626:
	s_cmp_gt_i32 s0, 14
	s_cbranch_scc0 .LBB18_1629
; %bb.1627:
	s_cmp_eq_u32 s0, 15
	s_cbranch_scc0 .LBB18_1632
; %bb.1628:
	global_load_ushort v9, v[7:8], off
	s_mov_b32 s4, 0
	s_mov_b32 s6, -1
	s_waitcnt vmcnt(0)
	v_lshlrev_b32_e32 v9, 16, v9
	s_branch .LBB18_1634
.LBB18_1629:
	s_mov_b32 s5, -1
	s_branch .LBB18_1633
.LBB18_1630:
	s_or_saveexec_b32 s6, s6
	v_mov_b32_e32 v9, 0x7f800001
	s_xor_b32 exec_lo, exec_lo, s6
	s_cbranch_execz .LBB18_1611
.LBB18_1631:
	v_cmp_ne_u16_e32 vcc_lo, 0, v10
	v_mov_b32_e32 v9, 0
	s_andn2_b32 s5, s5, exec_lo
	s_and_b32 s7, vcc_lo, exec_lo
	s_or_b32 s5, s5, s7
	s_or_b32 exec_lo, exec_lo, s6
	s_and_saveexec_b32 s6, s5
	s_cbranch_execnz .LBB18_1612
	s_branch .LBB18_1613
.LBB18_1632:
	s_mov_b32 s4, -1
.LBB18_1633:
                                        ; implicit-def: $vgpr9
.LBB18_1634:
	s_and_b32 vcc_lo, exec_lo, s5
	s_mov_b32 s5, 0
	s_cbranch_vccz .LBB18_1636
; %bb.1635:
	s_cmp_lg_u32 s0, 11
	s_mov_b32 s5, -1
	s_cselect_b32 s4, -1, 0
.LBB18_1636:
	s_and_b32 vcc_lo, exec_lo, s4
	s_cbranch_vccnz .LBB18_2174
; %bb.1637:
	s_andn2_b32 vcc_lo, exec_lo, s5
	s_cbranch_vccnz .LBB18_1639
.LBB18_1638:
	global_load_ubyte v9, v[7:8], off
	s_mov_b32 s6, -1
	s_waitcnt vmcnt(0)
	v_cmp_ne_u16_e32 vcc_lo, 0, v9
	v_cndmask_b32_e64 v9, 0, 1.0, vcc_lo
.LBB18_1639:
	s_mov_b32 s0, 0
.LBB18_1640:
	s_and_b32 vcc_lo, exec_lo, s0
	s_cbranch_vccz .LBB18_1689
; %bb.1641:
	s_and_b32 s0, 0xffff, s3
	s_cmp_lt_i32 s0, 5
	s_cbranch_scc1 .LBB18_1646
; %bb.1642:
	s_cmp_lt_i32 s0, 8
	s_cbranch_scc1 .LBB18_1647
; %bb.1643:
	;; [unrolled: 3-line block ×3, first 2 shown]
	s_cmp_gt_i32 s0, 9
	s_cbranch_scc0 .LBB18_1649
; %bb.1645:
	global_load_dwordx2 v[9:10], v[7:8], off
	s_mov_b32 s3, 0
	s_waitcnt vmcnt(0)
	v_cvt_f32_f64_e32 v9, v[9:10]
	s_branch .LBB18_1650
.LBB18_1646:
	s_mov_b32 s3, -1
                                        ; implicit-def: $vgpr9
	s_branch .LBB18_1668
.LBB18_1647:
	s_mov_b32 s3, -1
                                        ; implicit-def: $vgpr9
	s_branch .LBB18_1656
.LBB18_1648:
	s_mov_b32 s3, -1
                                        ; implicit-def: $vgpr9
	s_branch .LBB18_1653
.LBB18_1649:
	s_mov_b32 s3, -1
                                        ; implicit-def: $vgpr9
.LBB18_1650:
	s_andn2_b32 vcc_lo, exec_lo, s3
	s_cbranch_vccnz .LBB18_1652
; %bb.1651:
	global_load_dword v9, v[7:8], off
.LBB18_1652:
	s_mov_b32 s3, 0
.LBB18_1653:
	s_andn2_b32 vcc_lo, exec_lo, s3
	s_cbranch_vccnz .LBB18_1655
; %bb.1654:
	global_load_dword v9, v[7:8], off
	s_waitcnt vmcnt(0)
	v_cvt_f32_f16_e32 v9, v9
.LBB18_1655:
	s_mov_b32 s3, 0
.LBB18_1656:
	s_andn2_b32 vcc_lo, exec_lo, s3
	s_cbranch_vccnz .LBB18_1667
; %bb.1657:
	s_cmp_lt_i32 s0, 6
	s_cbranch_scc1 .LBB18_1660
; %bb.1658:
	s_cmp_gt_i32 s0, 6
	s_cbranch_scc0 .LBB18_1661
; %bb.1659:
	global_load_dwordx2 v[9:10], v[7:8], off
	s_mov_b32 s3, 0
	s_waitcnt vmcnt(0)
	v_cvt_f32_f64_e32 v9, v[9:10]
	s_branch .LBB18_1662
.LBB18_1660:
	s_mov_b32 s3, -1
                                        ; implicit-def: $vgpr9
	s_branch .LBB18_1665
.LBB18_1661:
	s_mov_b32 s3, -1
                                        ; implicit-def: $vgpr9
.LBB18_1662:
	s_andn2_b32 vcc_lo, exec_lo, s3
	s_cbranch_vccnz .LBB18_1664
; %bb.1663:
	global_load_dword v9, v[7:8], off
.LBB18_1664:
	s_mov_b32 s3, 0
.LBB18_1665:
	s_andn2_b32 vcc_lo, exec_lo, s3
	s_cbranch_vccnz .LBB18_1667
; %bb.1666:
	global_load_ushort v9, v[7:8], off
	s_waitcnt vmcnt(0)
	v_cvt_f32_f16_e32 v9, v9
.LBB18_1667:
	s_mov_b32 s3, 0
.LBB18_1668:
	s_andn2_b32 vcc_lo, exec_lo, s3
	s_cbranch_vccnz .LBB18_1688
; %bb.1669:
	s_cmp_lt_i32 s0, 2
	s_cbranch_scc1 .LBB18_1673
; %bb.1670:
	s_cmp_lt_i32 s0, 3
	s_cbranch_scc1 .LBB18_1674
; %bb.1671:
	s_cmp_gt_i32 s0, 3
	s_cbranch_scc0 .LBB18_1675
; %bb.1672:
	global_load_dwordx2 v[9:10], v[7:8], off
	s_mov_b32 s3, 0
	s_waitcnt vmcnt(0)
	v_xor_b32_e32 v11, v9, v10
	v_ffbh_i32_e32 v12, v10
	v_ashrrev_i32_e32 v11, 31, v11
	v_add_nc_u32_e32 v12, -1, v12
	v_add_nc_u32_e32 v11, 32, v11
	v_min_u32_e32 v11, v12, v11
	v_lshlrev_b64 v[9:10], v11, v[9:10]
	v_min_u32_e32 v9, 1, v9
	v_or_b32_e32 v9, v10, v9
	v_sub_nc_u32_e32 v10, 32, v11
	v_cvt_f32_i32_e32 v9, v9
	v_ldexp_f32 v9, v9, v10
	s_branch .LBB18_1676
.LBB18_1673:
	s_mov_b32 s3, -1
                                        ; implicit-def: $vgpr9
	s_branch .LBB18_1682
.LBB18_1674:
	s_mov_b32 s3, -1
                                        ; implicit-def: $vgpr9
	s_branch .LBB18_1679
.LBB18_1675:
	s_mov_b32 s3, -1
                                        ; implicit-def: $vgpr9
.LBB18_1676:
	s_andn2_b32 vcc_lo, exec_lo, s3
	s_cbranch_vccnz .LBB18_1678
; %bb.1677:
	global_load_dword v9, v[7:8], off
	s_waitcnt vmcnt(0)
	v_cvt_f32_i32_e32 v9, v9
.LBB18_1678:
	s_mov_b32 s3, 0
.LBB18_1679:
	s_andn2_b32 vcc_lo, exec_lo, s3
	s_cbranch_vccnz .LBB18_1681
; %bb.1680:
	global_load_sshort v9, v[7:8], off
	s_waitcnt vmcnt(0)
	v_cvt_f32_i32_e32 v9, v9
.LBB18_1681:
	s_mov_b32 s3, 0
.LBB18_1682:
	s_andn2_b32 vcc_lo, exec_lo, s3
	s_cbranch_vccnz .LBB18_1688
; %bb.1683:
	s_cmp_gt_i32 s0, 0
	s_mov_b32 s0, 0
	s_cbranch_scc0 .LBB18_1685
; %bb.1684:
	global_load_sbyte v9, v[7:8], off
	s_waitcnt vmcnt(0)
	v_cvt_f32_i32_e32 v9, v9
	s_branch .LBB18_1686
.LBB18_1685:
	s_mov_b32 s0, -1
                                        ; implicit-def: $vgpr9
.LBB18_1686:
	s_andn2_b32 vcc_lo, exec_lo, s0
	s_cbranch_vccnz .LBB18_1688
; %bb.1687:
	global_load_ubyte v7, v[7:8], off
	s_waitcnt vmcnt(0)
	v_cvt_f32_ubyte0_e32 v9, v7
.LBB18_1688:
	s_mov_b32 s6, -1
.LBB18_1689:
	s_andn2_b32 vcc_lo, exec_lo, s6
	s_cbranch_vccnz .LBB18_1772
; %bb.1690:
	s_waitcnt vmcnt(0)
	v_cmp_ge_f32_e64 s0, 0x41000000, |v9|
                                        ; implicit-def: $vgpr7
	s_and_saveexec_b32 s3, s0
	s_xor_b32 s0, exec_lo, s3
	s_cbranch_execz .LBB18_1692
; %bb.1691:
	v_fma_f32 v7, |v9|, 0.5, -2.0
	s_mov_b32 s3, 0xa2a2e5b9
	v_mul_f32_e64 v11, 0x3fb8aa3b, |v9|
	v_cmp_ngt_f32_e64 vcc_lo, 0xc2ce8ed0, |v9|
	v_fmaak_f32 v8, s3, v7, 0x24199b15
	v_rndne_f32_e32 v12, v11
	v_fma_f32 v13, 0x3fb8aa3b, |v9|, -v11
	v_fmaak_f32 v10, v7, v8, 0x22a2e5b9
	v_sub_f32_e32 v11, v11, v12
	v_fma_f32 v13, 0x32a5705f, |v9|, v13
	v_cvt_i32_f32_e32 v12, v12
	v_add_f32_e32 v10, 0xa58c275c, v10
	v_add_f32_e32 v11, v11, v13
	v_fma_f32 v8, v7, v10, -v8
	v_exp_f32_e32 v11, v11
	v_add_f32_e32 v8, 0x26f736c5, v8
	v_fma_f32 v10, v7, v8, -v10
	v_add_f32_e32 v10, 0xa8528116, v10
	v_fma_f32 v8, v7, v10, -v8
	;; [unrolled: 2-line block ×26, first 2 shown]
	v_ldexp_f32 v10, v11, v12
	v_add_f32_e32 v7, 0x3f2d4275, v7
	v_cndmask_b32_e32 v10, 0, v10, vcc_lo
	v_cmp_nlt_f32_e64 vcc_lo, 0x42b17218, |v9|
                                        ; implicit-def: $vgpr9
	v_sub_f32_e32 v7, v7, v8
	v_cndmask_b32_e32 v8, 0x7f800000, v10, vcc_lo
	v_mul_f32_e32 v7, 0.5, v7
	v_mul_f32_e32 v7, v8, v7
.LBB18_1692:
	s_andn2_saveexec_b32 s3, s0
	s_cbranch_execz .LBB18_1694
; %bb.1693:
	v_and_b32_e32 v7, 0x7fffffff, v9
	s_mov_b32 s0, 0xa3056dbb
	v_div_scale_f32 v8, null, v7, v7, 0x42000000
	v_div_scale_f32 v7, vcc_lo, 0x42000000, v7, 0x42000000
	v_rcp_f32_e32 v10, v8
	v_fma_f32 v11, -v8, v10, 1.0
	v_fmac_f32_e32 v10, v11, v10
	v_mul_f32_e32 v11, v7, v10
	v_fma_f32 v12, -v8, v11, v7
	v_fmac_f32_e32 v11, v12, v10
	v_mul_f32_e64 v12, 0x3fb8aa3b, |v9|
	v_fma_f32 v7, -v8, v11, v7
	v_rndne_f32_e32 v13, v12
	v_fma_f32 v14, 0x3fb8aa3b, |v9|, -v12
	v_div_fmas_f32 v7, v7, v10, v11
	v_mul_f32_e64 v11, 0x4f800000, |v9|
	v_cmp_gt_f32_e64 vcc_lo, 0xf800000, |v9|
	v_sub_f32_e32 v12, v12, v13
	v_fma_f32 v14, 0x32a5705f, |v9|, v14
	v_div_fixup_f32 v7, v7, |v9|, 0x42000000
	v_cvt_i32_f32_e32 v13, v13
	v_cndmask_b32_e64 v11, |v9|, v11, vcc_lo
	v_add_f32_e32 v12, v12, v14
	v_add_f32_e32 v7, -2.0, v7
	v_sqrt_f32_e32 v15, v11
	v_exp_f32_e32 v12, v12
	v_fmaak_f32 v8, s0, v7, 0xa2b236d3
	v_fmaak_f32 v10, v7, v8, 0x23056dbb
	v_add_nc_u32_e32 v14, -1, v15
	v_add_nc_u32_e32 v16, 1, v15
	v_add_f32_e32 v10, 0x244df0c1, v10
	v_fma_f32 v17, -v14, v15, v11
	v_fma_f32 v18, -v16, v15, v11
	v_fma_f32 v8, v7, v10, -v8
	v_cmp_ge_f32_e64 s0, 0, v17
	v_add_f32_e32 v8, 0x241f9ee8, v8
	v_cndmask_b32_e64 v14, v15, v14, s0
	v_cmp_lt_f32_e64 s0, 0, v18
	v_fma_f32 v10, v7, v8, -v10
	v_add_f32_e32 v10, 0xa5a3005d, v10
	v_fma_f32 v8, v7, v10, -v8
	v_add_f32_e32 v8, 0xa5c5773f, v8
	;; [unrolled: 2-line block ×20, first 2 shown]
	v_fma_f32 v7, v7, v8, -v10
	v_ldexp_f32 v8, v12, v13
	v_cndmask_b32_e64 v12, v14, v16, s0
	v_cmp_ngt_f32_e64 s0, 0xc2ce8ed0, |v9|
	v_add_f32_e32 v7, 0x3f4df315, v7
	v_mul_f32_e32 v13, 0x37800000, v12
	v_cndmask_b32_e64 v8, 0, v8, s0
	v_cmp_nlt_f32_e64 s0, 0x42b17218, |v9|
	v_sub_f32_e32 v7, v7, v10
	v_cndmask_b32_e32 v9, v12, v13, vcc_lo
	v_cmp_class_f32_e64 vcc_lo, v11, 0x260
	v_cndmask_b32_e64 v8, 0x7f800000, v8, s0
	v_mul_f32_e32 v7, 0.5, v7
	v_cndmask_b32_e32 v9, v9, v11, vcc_lo
	v_mul_f32_e32 v7, v8, v7
	v_div_scale_f32 v8, null, v9, v9, v7
	v_rcp_f32_e32 v10, v8
	v_fma_f32 v11, -v8, v10, 1.0
	v_fmac_f32_e32 v10, v11, v10
	v_div_scale_f32 v11, vcc_lo, v7, v9, v7
	v_mul_f32_e32 v12, v11, v10
	v_fma_f32 v13, -v8, v12, v11
	v_fmac_f32_e32 v12, v13, v10
	v_fma_f32 v8, -v8, v12, v11
	v_div_fmas_f32 v8, v8, v10, v12
	v_div_fixup_f32 v7, v8, v9, v7
.LBB18_1694:
	s_or_b32 exec_lo, exec_lo, s3
	v_add_co_u32 v8, s0, s8, v6
	v_add_co_ci_u32_e64 v9, null, s9, 0, s0
	s_bfe_u32 s3, s2, 0x80008
	s_cmp_lt_i32 s3, 11
	s_cbranch_scc1 .LBB18_1817
; %bb.1695:
	s_and_b32 s4, 0xffff, s3
	s_mov_b32 s7, -1
	s_mov_b32 s5, 0
	s_cmp_gt_i32 s4, 25
	s_mov_b32 s6, 0
	s_mov_b32 s0, 0
	s_cbranch_scc0 .LBB18_1728
; %bb.1696:
	s_cmp_gt_i32 s4, 28
	s_cbranch_scc0 .LBB18_1711
; %bb.1697:
	s_cmp_gt_i32 s4, 43
	;; [unrolled: 3-line block ×3, first 2 shown]
	s_cbranch_scc0 .LBB18_1701
; %bb.1699:
	s_mov_b32 s0, -1
	s_mov_b32 s7, 0
	s_cmp_eq_u32 s4, 46
	s_cbranch_scc0 .LBB18_1701
; %bb.1700:
	v_bfe_u32 v6, v5, 16, 1
	v_cmp_o_f32_e32 vcc_lo, v5, v5
	v_mov_b32_e32 v10, 0x7fc0
	s_mov_b32 s0, 0
	s_mov_b32 s6, -1
	v_add3_u32 v6, v5, v6, 0x7fff
	v_cndmask_b32_sdwa v6, v10, v6, vcc_lo dst_sel:DWORD dst_unused:UNUSED_PAD src0_sel:DWORD src1_sel:WORD_1
	global_store_dword v[8:9], v6, off
.LBB18_1701:
	s_and_b32 vcc_lo, exec_lo, s7
	s_cbranch_vccz .LBB18_1706
; %bb.1702:
	s_cmp_eq_u32 s4, 44
	s_mov_b32 s0, -1
	s_cbranch_scc0 .LBB18_1706
; %bb.1703:
	v_bfe_u32 v10, v5, 23, 8
	v_mov_b32_e32 v6, 0xff
	s_mov_b32 s6, exec_lo
	v_cmpx_ne_u32_e32 0xff, v10
	s_cbranch_execz .LBB18_1705
; %bb.1704:
	v_and_b32_e32 v6, 0x400000, v5
	v_and_or_b32 v10, 0x3fffff, v5, v10
	v_cmp_ne_u32_e32 vcc_lo, 0, v6
	v_cmp_ne_u32_e64 s0, 0, v10
	v_lshrrev_b32_e32 v6, 23, v5
	s_and_b32 s0, vcc_lo, s0
	v_cndmask_b32_e64 v10, 0, 1, s0
	v_add_nc_u32_e32 v6, v6, v10
.LBB18_1705:
	s_or_b32 exec_lo, exec_lo, s6
	s_mov_b32 s0, 0
	s_mov_b32 s6, -1
	global_store_byte v[8:9], v6, off
.LBB18_1706:
	s_mov_b32 s7, 0
.LBB18_1707:
	s_and_b32 vcc_lo, exec_lo, s7
	s_cbranch_vccz .LBB18_1710
; %bb.1708:
	s_cmp_eq_u32 s4, 29
	s_mov_b32 s0, -1
	s_cbranch_scc0 .LBB18_1710
; %bb.1709:
	v_trunc_f32_e32 v6, v5
	s_mov_b32 s0, 0
	s_mov_b32 s6, -1
	v_mul_f32_e32 v10, 0x2f800000, v6
	v_floor_f32_e32 v10, v10
	v_fmamk_f32 v6, v10, 0xcf800000, v6
	v_cvt_u32_f32_e32 v11, v10
	v_cvt_u32_f32_e32 v10, v6
	global_store_dwordx2 v[8:9], v[10:11], off
.LBB18_1710:
	s_mov_b32 s7, 0
.LBB18_1711:
	s_and_b32 vcc_lo, exec_lo, s7
	s_cbranch_vccz .LBB18_1727
; %bb.1712:
	s_cmp_lt_i32 s4, 27
	s_mov_b32 s6, -1
	s_cbranch_scc1 .LBB18_1718
; %bb.1713:
	v_cvt_u32_f32_e32 v6, v5
	s_cmp_gt_i32 s4, 27
	s_cbranch_scc0 .LBB18_1715
; %bb.1714:
	s_mov_b32 s6, 0
	global_store_dword v[8:9], v6, off
.LBB18_1715:
	s_andn2_b32 vcc_lo, exec_lo, s6
	s_cbranch_vccnz .LBB18_1717
; %bb.1716:
	global_store_short v[8:9], v6, off
.LBB18_1717:
	s_mov_b32 s6, 0
.LBB18_1718:
	s_andn2_b32 vcc_lo, exec_lo, s6
	s_cbranch_vccnz .LBB18_1726
; %bb.1719:
	v_and_b32_e32 v6, 0x7fffffff, v5
	v_mov_b32_e32 v10, 0x80
	s_mov_b32 s6, exec_lo
	v_cmpx_gt_u32_e32 0x43800000, v6
	s_cbranch_execz .LBB18_1725
; %bb.1720:
	v_cmp_lt_u32_e32 vcc_lo, 0x3bffffff, v6
	s_mov_b32 s7, 0
                                        ; implicit-def: $vgpr6
	s_and_saveexec_b32 s10, vcc_lo
	s_xor_b32 s10, exec_lo, s10
	s_cbranch_execz .LBB18_2175
; %bb.1721:
	v_bfe_u32 v6, v5, 20, 1
	s_mov_b32 s7, exec_lo
	v_add3_u32 v6, v5, v6, 0x487ffff
	v_lshrrev_b32_e32 v6, 20, v6
	s_andn2_saveexec_b32 s10, s10
	s_cbranch_execnz .LBB18_2176
.LBB18_1722:
	s_or_b32 exec_lo, exec_lo, s10
	v_mov_b32_e32 v10, 0
	s_and_saveexec_b32 s10, s7
.LBB18_1723:
	v_lshrrev_b32_e32 v10, 24, v5
	v_and_or_b32 v10, 0x80, v10, v6
.LBB18_1724:
	s_or_b32 exec_lo, exec_lo, s10
.LBB18_1725:
	s_or_b32 exec_lo, exec_lo, s6
	global_store_byte v[8:9], v10, off
.LBB18_1726:
	s_mov_b32 s6, -1
.LBB18_1727:
	s_mov_b32 s7, 0
.LBB18_1728:
	s_and_b32 vcc_lo, exec_lo, s7
	s_cbranch_vccz .LBB18_1768
; %bb.1729:
	s_cmp_gt_i32 s4, 22
	s_mov_b32 s5, -1
	s_cbranch_scc0 .LBB18_1761
; %bb.1730:
	s_cmp_lt_i32 s4, 24
	s_cbranch_scc1 .LBB18_1750
; %bb.1731:
	s_cmp_gt_i32 s4, 24
	s_cbranch_scc0 .LBB18_1739
; %bb.1732:
	v_and_b32_e32 v6, 0x7fffffff, v5
	v_mov_b32_e32 v10, 0x80
	s_mov_b32 s5, exec_lo
	v_cmpx_gt_u32_e32 0x47800000, v6
	s_cbranch_execz .LBB18_1738
; %bb.1733:
	v_cmp_lt_u32_e32 vcc_lo, 0x37ffffff, v6
	s_mov_b32 s6, 0
                                        ; implicit-def: $vgpr6
	s_and_saveexec_b32 s7, vcc_lo
	s_xor_b32 s7, exec_lo, s7
	s_cbranch_execz .LBB18_2178
; %bb.1734:
	v_bfe_u32 v6, v5, 21, 1
	s_mov_b32 s6, exec_lo
	v_add3_u32 v6, v5, v6, 0x88fffff
	v_lshrrev_b32_e32 v6, 21, v6
	s_andn2_saveexec_b32 s7, s7
	s_cbranch_execnz .LBB18_2179
.LBB18_1735:
	s_or_b32 exec_lo, exec_lo, s7
	v_mov_b32_e32 v10, 0
	s_and_saveexec_b32 s7, s6
.LBB18_1736:
	v_lshrrev_b32_e32 v10, 24, v5
	v_and_or_b32 v10, 0x80, v10, v6
.LBB18_1737:
	s_or_b32 exec_lo, exec_lo, s7
.LBB18_1738:
	s_or_b32 exec_lo, exec_lo, s5
	s_mov_b32 s5, 0
	global_store_byte v[8:9], v10, off
.LBB18_1739:
	s_and_b32 vcc_lo, exec_lo, s5
	s_cbranch_vccz .LBB18_1749
; %bb.1740:
	v_and_b32_e32 v10, 0x7fffffff, v5
	s_mov_b32 s5, exec_lo
                                        ; implicit-def: $vgpr6
	v_cmpx_gt_u32_e32 0x43f00000, v10
	s_xor_b32 s5, exec_lo, s5
	s_cbranch_execz .LBB18_1746
; %bb.1741:
	s_mov_b32 s6, exec_lo
                                        ; implicit-def: $vgpr6
	v_cmpx_lt_u32_e32 0x3c7fffff, v10
	s_xor_b32 s6, exec_lo, s6
; %bb.1742:
	v_bfe_u32 v6, v5, 20, 1
	v_add3_u32 v6, v5, v6, 0x407ffff
	v_and_b32_e32 v10, 0xff00000, v6
	v_lshrrev_b32_e32 v6, 20, v6
	v_cmp_ne_u32_e32 vcc_lo, 0x7f00000, v10
	v_cndmask_b32_e32 v6, 0x7e, v6, vcc_lo
; %bb.1743:
	s_andn2_saveexec_b32 s6, s6
; %bb.1744:
	v_add_f32_e64 v6, 0x46800000, |v5|
; %bb.1745:
	s_or_b32 exec_lo, exec_lo, s6
                                        ; implicit-def: $vgpr10
.LBB18_1746:
	s_andn2_saveexec_b32 s5, s5
; %bb.1747:
	v_mov_b32_e32 v6, 0x7f
	v_cmp_lt_u32_e32 vcc_lo, 0x7f800000, v10
	v_cndmask_b32_e32 v6, 0x7e, v6, vcc_lo
; %bb.1748:
	s_or_b32 exec_lo, exec_lo, s5
	v_lshrrev_b32_e32 v10, 24, v5
	v_and_or_b32 v6, 0x80, v10, v6
	global_store_byte v[8:9], v6, off
.LBB18_1749:
	s_mov_b32 s5, 0
.LBB18_1750:
	s_andn2_b32 vcc_lo, exec_lo, s5
	s_cbranch_vccnz .LBB18_1760
; %bb.1751:
	v_and_b32_e32 v10, 0x7fffffff, v5
	s_mov_b32 s5, exec_lo
                                        ; implicit-def: $vgpr6
	v_cmpx_gt_u32_e32 0x47800000, v10
	s_xor_b32 s5, exec_lo, s5
	s_cbranch_execz .LBB18_1757
; %bb.1752:
	s_mov_b32 s6, exec_lo
                                        ; implicit-def: $vgpr6
	v_cmpx_lt_u32_e32 0x387fffff, v10
	s_xor_b32 s6, exec_lo, s6
; %bb.1753:
	v_bfe_u32 v6, v5, 21, 1
	v_add3_u32 v6, v5, v6, 0x80fffff
	v_lshrrev_b32_e32 v6, 21, v6
; %bb.1754:
	s_andn2_saveexec_b32 s6, s6
; %bb.1755:
	v_add_f32_e64 v6, 0x43000000, |v5|
; %bb.1756:
	s_or_b32 exec_lo, exec_lo, s6
                                        ; implicit-def: $vgpr10
.LBB18_1757:
	s_andn2_saveexec_b32 s5, s5
; %bb.1758:
	v_mov_b32_e32 v6, 0x7f
	v_cmp_lt_u32_e32 vcc_lo, 0x7f800000, v10
	v_cndmask_b32_e32 v6, 0x7c, v6, vcc_lo
; %bb.1759:
	s_or_b32 exec_lo, exec_lo, s5
	v_lshrrev_b32_e32 v10, 24, v5
	v_and_or_b32 v6, 0x80, v10, v6
	global_store_byte v[8:9], v6, off
.LBB18_1760:
	s_mov_b32 s5, 0
	s_mov_b32 s6, -1
.LBB18_1761:
	s_andn2_b32 vcc_lo, exec_lo, s5
	s_mov_b32 s5, 0
	s_cbranch_vccnz .LBB18_1768
; %bb.1762:
	s_cmp_gt_i32 s4, 14
	s_mov_b32 s5, -1
	s_cbranch_scc0 .LBB18_1766
; %bb.1763:
	s_cmp_eq_u32 s4, 15
	s_mov_b32 s0, -1
	s_cbranch_scc0 .LBB18_1765
; %bb.1764:
	v_bfe_u32 v6, v5, 16, 1
	v_cmp_o_f32_e32 vcc_lo, v5, v5
	v_mov_b32_e32 v10, 0x7fc0
	s_mov_b32 s0, 0
	s_mov_b32 s6, -1
	v_add3_u32 v6, v5, v6, 0x7fff
	v_cndmask_b32_sdwa v6, v10, v6, vcc_lo dst_sel:DWORD dst_unused:UNUSED_PAD src0_sel:DWORD src1_sel:WORD_1
	global_store_short v[8:9], v6, off
.LBB18_1765:
	s_mov_b32 s5, 0
.LBB18_1766:
	s_and_b32 vcc_lo, exec_lo, s5
	s_mov_b32 s5, 0
	s_cbranch_vccz .LBB18_1768
; %bb.1767:
	s_cmp_lg_u32 s4, 11
	s_mov_b32 s5, -1
	s_cselect_b32 s0, -1, 0
.LBB18_1768:
	s_and_b32 vcc_lo, exec_lo, s0
	s_cbranch_vccnz .LBB18_2177
; %bb.1769:
	s_andn2_b32 vcc_lo, exec_lo, s5
	s_cbranch_vccnz .LBB18_1771
.LBB18_1770:
	v_cmp_neq_f32_e32 vcc_lo, 0, v5
	s_mov_b32 s6, -1
	v_cndmask_b32_e64 v6, 0, 1, vcc_lo
	global_store_byte v[8:9], v6, off
.LBB18_1771:
	s_mov_b32 s0, 0
	s_branch .LBB18_1818
.LBB18_1772:
	s_mov_b32 s0, 0
	s_mov_b32 s3, 0
                                        ; implicit-def: $vgpr0_vgpr1
                                        ; implicit-def: $sgpr6
                                        ; implicit-def: $vgpr7
.LBB18_1773:
	s_andn2_b32 s2, s12, exec_lo
	s_and_b32 s1, s1, exec_lo
	s_and_b32 s0, s0, exec_lo
	s_and_b32 s26, s3, exec_lo
	s_or_b32 s12, s2, s1
.LBB18_1774:
	s_or_b32 exec_lo, exec_lo, s13
	s_and_saveexec_b32 s1, s12
	s_cbranch_execz .LBB18_1777
; %bb.1775:
	; divergent unreachable
	s_or_b32 exec_lo, exec_lo, s1
	s_and_saveexec_b32 s1, s26
	s_xor_b32 s1, exec_lo, s1
	s_cbranch_execnz .LBB18_1778
.LBB18_1776:
	s_or_b32 exec_lo, exec_lo, s1
	s_and_saveexec_b32 s1, s0
	s_cbranch_execnz .LBB18_1779
	s_branch .LBB18_1816
.LBB18_1777:
	s_or_b32 exec_lo, exec_lo, s1
	s_and_saveexec_b32 s1, s26
	s_xor_b32 s1, exec_lo, s1
	s_cbranch_execz .LBB18_1776
.LBB18_1778:
	v_cmp_neq_f32_e32 vcc_lo, 0, v7
	v_cndmask_b32_e64 v2, 0, 1, vcc_lo
	s_waitcnt vmcnt(0)
	global_store_byte v[0:1], v2, off
	s_or_b32 exec_lo, exec_lo, s1
	s_and_saveexec_b32 s1, s0
	s_cbranch_execz .LBB18_1816
.LBB18_1779:
	s_sext_i32_i16 s1, s6
	s_mov_b32 s0, -1
	s_cmp_lt_i32 s1, 5
	s_cbranch_scc1 .LBB18_1800
; %bb.1780:
	s_cmp_lt_i32 s1, 8
	s_cbranch_scc1 .LBB18_1790
; %bb.1781:
	s_cmp_lt_i32 s1, 9
	s_cbranch_scc1 .LBB18_1787
; %bb.1782:
	s_cmp_gt_i32 s1, 9
	s_cbranch_scc0 .LBB18_1784
; %bb.1783:
	s_waitcnt vmcnt(0)
	v_cvt_f64_f32_e32 v[2:3], v7
	v_mov_b32_e32 v4, 0
	s_mov_b32 s0, 0
	v_mov_b32_e32 v5, v4
	global_store_dwordx4 v[0:1], v[2:5], off
.LBB18_1784:
	s_andn2_b32 vcc_lo, exec_lo, s0
	s_cbranch_vccnz .LBB18_1786
; %bb.1785:
	v_mov_b32_e32 v8, 0
	s_waitcnt vmcnt(0)
	global_store_dwordx2 v[0:1], v[7:8], off
.LBB18_1786:
	s_mov_b32 s0, 0
.LBB18_1787:
	s_andn2_b32 vcc_lo, exec_lo, s0
	s_cbranch_vccnz .LBB18_1789
; %bb.1788:
	v_cvt_f16_f32_e32 v2, v7
	v_and_b32_e32 v2, 0xffff, v2
	s_waitcnt vmcnt(0)
	global_store_dword v[0:1], v2, off
.LBB18_1789:
	s_mov_b32 s0, 0
.LBB18_1790:
	s_andn2_b32 vcc_lo, exec_lo, s0
	s_cbranch_vccnz .LBB18_1799
; %bb.1791:
	s_sext_i32_i16 s1, s6
	s_mov_b32 s0, -1
	s_cmp_lt_i32 s1, 6
	s_cbranch_scc1 .LBB18_1797
; %bb.1792:
	s_cmp_gt_i32 s1, 6
	s_cbranch_scc0 .LBB18_1794
; %bb.1793:
	s_waitcnt vmcnt(0)
	v_cvt_f64_f32_e32 v[2:3], v7
	s_mov_b32 s0, 0
	global_store_dwordx2 v[0:1], v[2:3], off
.LBB18_1794:
	s_andn2_b32 vcc_lo, exec_lo, s0
	s_cbranch_vccnz .LBB18_1796
; %bb.1795:
	s_waitcnt vmcnt(0)
	global_store_dword v[0:1], v7, off
.LBB18_1796:
	s_mov_b32 s0, 0
.LBB18_1797:
	s_andn2_b32 vcc_lo, exec_lo, s0
	s_cbranch_vccnz .LBB18_1799
; %bb.1798:
	v_cvt_f16_f32_e32 v2, v7
	s_waitcnt vmcnt(0)
	global_store_short v[0:1], v2, off
.LBB18_1799:
	s_mov_b32 s0, 0
.LBB18_1800:
	s_andn2_b32 vcc_lo, exec_lo, s0
	s_cbranch_vccnz .LBB18_1816
; %bb.1801:
	s_sext_i32_i16 s1, s6
	s_mov_b32 s0, -1
	s_cmp_lt_i32 s1, 2
	s_cbranch_scc1 .LBB18_1811
; %bb.1802:
	s_cmp_lt_i32 s1, 3
	s_cbranch_scc1 .LBB18_1808
; %bb.1803:
	s_cmp_gt_i32 s1, 3
	s_cbranch_scc0 .LBB18_1805
; %bb.1804:
	v_trunc_f32_e32 v2, v7
	s_mov_b32 s0, 0
	s_waitcnt vmcnt(0)
	v_mul_f32_e64 v3, 0x2f800000, |v2|
	v_ashrrev_i32_e32 v5, 31, v2
	v_floor_f32_e32 v3, v3
	v_fma_f32 v4, 0xcf800000, v3, |v2|
	v_cvt_u32_f32_e32 v3, v3
	v_cvt_u32_f32_e32 v2, v4
	v_xor_b32_e32 v3, v3, v5
	v_xor_b32_e32 v2, v2, v5
	v_sub_co_u32 v2, vcc_lo, v2, v5
	v_sub_co_ci_u32_e64 v3, null, v3, v5, vcc_lo
	global_store_dwordx2 v[0:1], v[2:3], off
.LBB18_1805:
	s_andn2_b32 vcc_lo, exec_lo, s0
	s_cbranch_vccnz .LBB18_1807
; %bb.1806:
	v_cvt_i32_f32_e32 v2, v7
	s_waitcnt vmcnt(0)
	global_store_dword v[0:1], v2, off
.LBB18_1807:
	s_mov_b32 s0, 0
.LBB18_1808:
	s_andn2_b32 vcc_lo, exec_lo, s0
	s_cbranch_vccnz .LBB18_1810
; %bb.1809:
	v_cvt_i32_f32_e32 v2, v7
	s_waitcnt vmcnt(0)
	global_store_short v[0:1], v2, off
.LBB18_1810:
	s_mov_b32 s0, 0
.LBB18_1811:
	s_andn2_b32 vcc_lo, exec_lo, s0
	s_cbranch_vccnz .LBB18_1816
; %bb.1812:
	s_sext_i32_i16 s0, s6
	s_cmp_gt_i32 s0, 0
	s_mov_b32 s0, -1
	s_cbranch_scc0 .LBB18_1814
; %bb.1813:
	v_cvt_i32_f32_e32 v2, v7
	s_mov_b32 s0, 0
	s_waitcnt vmcnt(0)
	global_store_byte v[0:1], v2, off
.LBB18_1814:
	s_andn2_b32 vcc_lo, exec_lo, s0
	s_cbranch_vccnz .LBB18_1816
; %bb.1815:
	v_trunc_f32_e32 v2, v7
	s_waitcnt vmcnt(0)
	v_mul_f32_e64 v3, 0x2f800000, |v2|
	v_floor_f32_e32 v3, v3
	v_fma_f32 v3, 0xcf800000, v3, |v2|
	v_ashrrev_i32_e32 v2, 31, v2
	v_cvt_u32_f32_e32 v3, v3
	v_xor_b32_e32 v3, v3, v2
	v_sub_nc_u32_e32 v2, v3, v2
	global_store_byte v[0:1], v2, off
	s_endpgm
.LBB18_1816:
	s_endpgm
.LBB18_1817:
	s_mov_b32 s0, -1
	s_mov_b32 s6, 0
.LBB18_1818:
	s_and_b32 vcc_lo, exec_lo, s0
	s_cbranch_vccz .LBB18_1857
; %bb.1819:
	s_and_b32 s0, 0xffff, s3
	s_mov_b32 s3, -1
	s_cmp_lt_i32 s0, 5
	s_cbranch_scc1 .LBB18_1840
; %bb.1820:
	s_cmp_lt_i32 s0, 8
	s_cbranch_scc1 .LBB18_1830
; %bb.1821:
	;; [unrolled: 3-line block ×3, first 2 shown]
	s_cmp_gt_i32 s0, 9
	s_cbranch_scc0 .LBB18_1824
; %bb.1823:
	v_cvt_f64_f32_e32 v[10:11], v5
	v_mov_b32_e32 v12, 0
	s_mov_b32 s3, 0
	v_mov_b32_e32 v13, v12
	global_store_dwordx4 v[8:9], v[10:13], off
.LBB18_1824:
	s_andn2_b32 vcc_lo, exec_lo, s3
	s_cbranch_vccnz .LBB18_1826
; %bb.1825:
	v_mov_b32_e32 v6, 0
	global_store_dwordx2 v[8:9], v[5:6], off
.LBB18_1826:
	s_mov_b32 s3, 0
.LBB18_1827:
	s_andn2_b32 vcc_lo, exec_lo, s3
	s_cbranch_vccnz .LBB18_1829
; %bb.1828:
	v_cvt_f16_f32_e32 v6, v5
	v_and_b32_e32 v6, 0xffff, v6
	global_store_dword v[8:9], v6, off
.LBB18_1829:
	s_mov_b32 s3, 0
.LBB18_1830:
	s_andn2_b32 vcc_lo, exec_lo, s3
	s_cbranch_vccnz .LBB18_1839
; %bb.1831:
	s_cmp_lt_i32 s0, 6
	s_mov_b32 s3, -1
	s_cbranch_scc1 .LBB18_1837
; %bb.1832:
	s_cmp_gt_i32 s0, 6
	s_cbranch_scc0 .LBB18_1834
; %bb.1833:
	v_cvt_f64_f32_e32 v[10:11], v5
	s_mov_b32 s3, 0
	global_store_dwordx2 v[8:9], v[10:11], off
.LBB18_1834:
	s_andn2_b32 vcc_lo, exec_lo, s3
	s_cbranch_vccnz .LBB18_1836
; %bb.1835:
	global_store_dword v[8:9], v5, off
.LBB18_1836:
	s_mov_b32 s3, 0
.LBB18_1837:
	s_andn2_b32 vcc_lo, exec_lo, s3
	s_cbranch_vccnz .LBB18_1839
; %bb.1838:
	v_cvt_f16_f32_e32 v6, v5
	global_store_short v[8:9], v6, off
.LBB18_1839:
	s_mov_b32 s3, 0
.LBB18_1840:
	s_andn2_b32 vcc_lo, exec_lo, s3
	s_cbranch_vccnz .LBB18_1856
; %bb.1841:
	s_cmp_lt_i32 s0, 2
	s_mov_b32 s3, -1
	s_cbranch_scc1 .LBB18_1851
; %bb.1842:
	s_cmp_lt_i32 s0, 3
	s_cbranch_scc1 .LBB18_1848
; %bb.1843:
	s_cmp_gt_i32 s0, 3
	s_cbranch_scc0 .LBB18_1845
; %bb.1844:
	v_trunc_f32_e32 v6, v5
	s_mov_b32 s3, 0
	v_mul_f32_e64 v10, 0x2f800000, |v6|
	v_floor_f32_e32 v10, v10
	v_fma_f32 v11, 0xcf800000, v10, |v6|
	v_ashrrev_i32_e32 v6, 31, v6
	v_cvt_u32_f32_e32 v10, v10
	v_cvt_u32_f32_e32 v11, v11
	v_xor_b32_e32 v12, v10, v6
	v_xor_b32_e32 v11, v11, v6
	v_sub_co_u32 v10, vcc_lo, v11, v6
	v_sub_co_ci_u32_e64 v11, null, v12, v6, vcc_lo
	global_store_dwordx2 v[8:9], v[10:11], off
.LBB18_1845:
	s_andn2_b32 vcc_lo, exec_lo, s3
	s_cbranch_vccnz .LBB18_1847
; %bb.1846:
	v_cvt_i32_f32_e32 v6, v5
	global_store_dword v[8:9], v6, off
.LBB18_1847:
	s_mov_b32 s3, 0
.LBB18_1848:
	s_andn2_b32 vcc_lo, exec_lo, s3
	s_cbranch_vccnz .LBB18_1850
; %bb.1849:
	v_cvt_i32_f32_e32 v6, v5
	global_store_short v[8:9], v6, off
.LBB18_1850:
	s_mov_b32 s3, 0
.LBB18_1851:
	s_andn2_b32 vcc_lo, exec_lo, s3
	s_cbranch_vccnz .LBB18_1856
; %bb.1852:
	s_cmp_gt_i32 s0, 0
	s_mov_b32 s0, -1
	s_cbranch_scc0 .LBB18_1854
; %bb.1853:
	v_cvt_i32_f32_e32 v6, v5
	s_mov_b32 s0, 0
	global_store_byte v[8:9], v6, off
.LBB18_1854:
	s_andn2_b32 vcc_lo, exec_lo, s0
	s_cbranch_vccnz .LBB18_1856
; %bb.1855:
	v_trunc_f32_e32 v5, v5
	v_mul_f32_e64 v6, 0x2f800000, |v5|
	v_floor_f32_e32 v6, v6
	v_fma_f32 v6, 0xcf800000, v6, |v5|
	v_ashrrev_i32_e32 v5, 31, v5
	v_cvt_u32_f32_e32 v6, v6
	v_xor_b32_e32 v6, v6, v5
	v_sub_nc_u32_e32 v5, v6, v5
	global_store_byte v[8:9], v5, off
.LBB18_1856:
	s_mov_b32 s6, -1
.LBB18_1857:
	s_andn2_b32 vcc_lo, exec_lo, s6
	s_cbranch_vccnz .LBB18_2172
; %bb.1858:
	s_lshr_b32 s0, s2, 8
	s_and_b32 s6, s0, 0xff
	v_add_co_u32 v5, s0, s8, v4
	v_add_co_ci_u32_e64 v6, null, s9, 0, s0
	s_cmp_lt_i32 s6, 11
	s_cbranch_scc1 .LBB18_1936
; %bb.1859:
	s_and_b32 s2, 0xffff, s6
	s_mov_b32 s5, -1
	s_mov_b32 s3, 0
	s_cmp_gt_i32 s2, 25
	s_mov_b32 s4, 0
	s_mov_b32 s0, 0
	s_cbranch_scc0 .LBB18_1892
; %bb.1860:
	s_cmp_gt_i32 s2, 28
	s_cbranch_scc0 .LBB18_1875
; %bb.1861:
	s_cmp_gt_i32 s2, 43
	;; [unrolled: 3-line block ×3, first 2 shown]
	s_cbranch_scc0 .LBB18_1865
; %bb.1863:
	s_mov_b32 s0, -1
	s_mov_b32 s5, 0
	s_cmp_eq_u32 s2, 46
	s_cbranch_scc0 .LBB18_1865
; %bb.1864:
	v_bfe_u32 v4, v3, 16, 1
	v_cmp_o_f32_e32 vcc_lo, v3, v3
	v_mov_b32_e32 v8, 0x7fc0
	s_mov_b32 s0, 0
	s_mov_b32 s4, -1
	v_add3_u32 v4, v3, v4, 0x7fff
	v_cndmask_b32_sdwa v4, v8, v4, vcc_lo dst_sel:DWORD dst_unused:UNUSED_PAD src0_sel:DWORD src1_sel:WORD_1
	global_store_dword v[5:6], v4, off
.LBB18_1865:
	s_and_b32 vcc_lo, exec_lo, s5
	s_cbranch_vccz .LBB18_1870
; %bb.1866:
	s_cmp_eq_u32 s2, 44
	s_mov_b32 s0, -1
	s_cbranch_scc0 .LBB18_1870
; %bb.1867:
	v_bfe_u32 v8, v3, 23, 8
	v_mov_b32_e32 v4, 0xff
	s_mov_b32 s4, exec_lo
	v_cmpx_ne_u32_e32 0xff, v8
	s_cbranch_execz .LBB18_1869
; %bb.1868:
	v_and_b32_e32 v4, 0x400000, v3
	v_and_or_b32 v8, 0x3fffff, v3, v8
	v_cmp_ne_u32_e32 vcc_lo, 0, v4
	v_cmp_ne_u32_e64 s0, 0, v8
	v_lshrrev_b32_e32 v4, 23, v3
	s_and_b32 s0, vcc_lo, s0
	v_cndmask_b32_e64 v8, 0, 1, s0
	v_add_nc_u32_e32 v4, v4, v8
.LBB18_1869:
	s_or_b32 exec_lo, exec_lo, s4
	s_mov_b32 s0, 0
	s_mov_b32 s4, -1
	global_store_byte v[5:6], v4, off
.LBB18_1870:
	s_mov_b32 s5, 0
.LBB18_1871:
	s_and_b32 vcc_lo, exec_lo, s5
	s_cbranch_vccz .LBB18_1874
; %bb.1872:
	s_cmp_eq_u32 s2, 29
	s_mov_b32 s0, -1
	s_cbranch_scc0 .LBB18_1874
; %bb.1873:
	v_trunc_f32_e32 v4, v3
	s_mov_b32 s0, 0
	s_mov_b32 s4, -1
	v_mul_f32_e32 v8, 0x2f800000, v4
	v_floor_f32_e32 v8, v8
	v_fmamk_f32 v4, v8, 0xcf800000, v4
	v_cvt_u32_f32_e32 v9, v8
	v_cvt_u32_f32_e32 v8, v4
	global_store_dwordx2 v[5:6], v[8:9], off
.LBB18_1874:
	s_mov_b32 s5, 0
.LBB18_1875:
	s_and_b32 vcc_lo, exec_lo, s5
	s_cbranch_vccz .LBB18_1891
; %bb.1876:
	s_cmp_lt_i32 s2, 27
	s_mov_b32 s4, -1
	s_cbranch_scc1 .LBB18_1882
; %bb.1877:
	s_cmp_gt_i32 s2, 27
	s_cbranch_scc0 .LBB18_1879
; %bb.1878:
	v_cvt_u32_f32_e32 v4, v3
	s_mov_b32 s4, 0
	global_store_dword v[5:6], v4, off
.LBB18_1879:
	s_andn2_b32 vcc_lo, exec_lo, s4
	s_cbranch_vccnz .LBB18_1881
; %bb.1880:
	v_cvt_u32_f32_e32 v4, v3
	global_store_short v[5:6], v4, off
.LBB18_1881:
	s_mov_b32 s4, 0
.LBB18_1882:
	s_andn2_b32 vcc_lo, exec_lo, s4
	s_cbranch_vccnz .LBB18_1890
; %bb.1883:
	v_and_b32_e32 v4, 0x7fffffff, v3
	v_mov_b32_e32 v8, 0x80
	s_mov_b32 s4, exec_lo
	v_cmpx_gt_u32_e32 0x43800000, v4
	s_cbranch_execz .LBB18_1889
; %bb.1884:
	v_cmp_lt_u32_e32 vcc_lo, 0x3bffffff, v4
	s_mov_b32 s5, 0
                                        ; implicit-def: $vgpr4
	s_and_saveexec_b32 s7, vcc_lo
	s_xor_b32 s7, exec_lo, s7
	s_cbranch_execz .LBB18_2180
; %bb.1885:
	v_bfe_u32 v4, v3, 20, 1
	s_mov_b32 s5, exec_lo
	v_add3_u32 v4, v3, v4, 0x487ffff
	v_lshrrev_b32_e32 v4, 20, v4
	s_andn2_saveexec_b32 s7, s7
	s_cbranch_execnz .LBB18_2181
.LBB18_1886:
	s_or_b32 exec_lo, exec_lo, s7
	v_mov_b32_e32 v8, 0
	s_and_saveexec_b32 s7, s5
.LBB18_1887:
	v_lshrrev_b32_e32 v8, 24, v3
	v_and_or_b32 v8, 0x80, v8, v4
.LBB18_1888:
	s_or_b32 exec_lo, exec_lo, s7
.LBB18_1889:
	s_or_b32 exec_lo, exec_lo, s4
	global_store_byte v[5:6], v8, off
.LBB18_1890:
	s_mov_b32 s4, -1
.LBB18_1891:
	s_mov_b32 s5, 0
.LBB18_1892:
	s_and_b32 vcc_lo, exec_lo, s5
	s_cbranch_vccz .LBB18_1932
; %bb.1893:
	s_cmp_gt_i32 s2, 22
	s_mov_b32 s3, -1
	s_cbranch_scc0 .LBB18_1925
; %bb.1894:
	s_cmp_lt_i32 s2, 24
	s_cbranch_scc1 .LBB18_1914
; %bb.1895:
	s_cmp_gt_i32 s2, 24
	s_cbranch_scc0 .LBB18_1903
; %bb.1896:
	v_and_b32_e32 v4, 0x7fffffff, v3
	v_mov_b32_e32 v8, 0x80
	s_mov_b32 s3, exec_lo
	v_cmpx_gt_u32_e32 0x47800000, v4
	s_cbranch_execz .LBB18_1902
; %bb.1897:
	v_cmp_lt_u32_e32 vcc_lo, 0x37ffffff, v4
	s_mov_b32 s4, 0
                                        ; implicit-def: $vgpr4
	s_and_saveexec_b32 s5, vcc_lo
	s_xor_b32 s5, exec_lo, s5
	s_cbranch_execz .LBB18_2183
; %bb.1898:
	v_bfe_u32 v4, v3, 21, 1
	s_mov_b32 s4, exec_lo
	v_add3_u32 v4, v3, v4, 0x88fffff
	v_lshrrev_b32_e32 v4, 21, v4
	s_andn2_saveexec_b32 s5, s5
	s_cbranch_execnz .LBB18_2184
.LBB18_1899:
	s_or_b32 exec_lo, exec_lo, s5
	v_mov_b32_e32 v8, 0
	s_and_saveexec_b32 s5, s4
.LBB18_1900:
	v_lshrrev_b32_e32 v8, 24, v3
	v_and_or_b32 v8, 0x80, v8, v4
.LBB18_1901:
	s_or_b32 exec_lo, exec_lo, s5
.LBB18_1902:
	s_or_b32 exec_lo, exec_lo, s3
	s_mov_b32 s3, 0
	global_store_byte v[5:6], v8, off
.LBB18_1903:
	s_and_b32 vcc_lo, exec_lo, s3
	s_cbranch_vccz .LBB18_1913
; %bb.1904:
	v_and_b32_e32 v8, 0x7fffffff, v3
	s_mov_b32 s3, exec_lo
                                        ; implicit-def: $vgpr4
	v_cmpx_gt_u32_e32 0x43f00000, v8
	s_xor_b32 s3, exec_lo, s3
	s_cbranch_execz .LBB18_1910
; %bb.1905:
	s_mov_b32 s4, exec_lo
                                        ; implicit-def: $vgpr4
	v_cmpx_lt_u32_e32 0x3c7fffff, v8
	s_xor_b32 s4, exec_lo, s4
; %bb.1906:
	v_bfe_u32 v4, v3, 20, 1
	v_add3_u32 v4, v3, v4, 0x407ffff
	v_and_b32_e32 v8, 0xff00000, v4
	v_lshrrev_b32_e32 v4, 20, v4
	v_cmp_ne_u32_e32 vcc_lo, 0x7f00000, v8
	v_cndmask_b32_e32 v4, 0x7e, v4, vcc_lo
; %bb.1907:
	s_andn2_saveexec_b32 s4, s4
; %bb.1908:
	v_add_f32_e64 v4, 0x46800000, |v3|
; %bb.1909:
	s_or_b32 exec_lo, exec_lo, s4
                                        ; implicit-def: $vgpr8
.LBB18_1910:
	s_andn2_saveexec_b32 s3, s3
; %bb.1911:
	v_mov_b32_e32 v4, 0x7f
	v_cmp_lt_u32_e32 vcc_lo, 0x7f800000, v8
	v_cndmask_b32_e32 v4, 0x7e, v4, vcc_lo
; %bb.1912:
	s_or_b32 exec_lo, exec_lo, s3
	v_lshrrev_b32_e32 v8, 24, v3
	v_and_or_b32 v4, 0x80, v8, v4
	global_store_byte v[5:6], v4, off
.LBB18_1913:
	s_mov_b32 s3, 0
.LBB18_1914:
	s_andn2_b32 vcc_lo, exec_lo, s3
	s_cbranch_vccnz .LBB18_1924
; %bb.1915:
	v_and_b32_e32 v8, 0x7fffffff, v3
	s_mov_b32 s3, exec_lo
                                        ; implicit-def: $vgpr4
	v_cmpx_gt_u32_e32 0x47800000, v8
	s_xor_b32 s3, exec_lo, s3
	s_cbranch_execz .LBB18_1921
; %bb.1916:
	s_mov_b32 s4, exec_lo
                                        ; implicit-def: $vgpr4
	v_cmpx_lt_u32_e32 0x387fffff, v8
	s_xor_b32 s4, exec_lo, s4
; %bb.1917:
	v_bfe_u32 v4, v3, 21, 1
	v_add3_u32 v4, v3, v4, 0x80fffff
	v_lshrrev_b32_e32 v4, 21, v4
; %bb.1918:
	s_andn2_saveexec_b32 s4, s4
; %bb.1919:
	v_add_f32_e64 v4, 0x43000000, |v3|
; %bb.1920:
	s_or_b32 exec_lo, exec_lo, s4
                                        ; implicit-def: $vgpr8
.LBB18_1921:
	s_andn2_saveexec_b32 s3, s3
; %bb.1922:
	v_mov_b32_e32 v4, 0x7f
	v_cmp_lt_u32_e32 vcc_lo, 0x7f800000, v8
	v_cndmask_b32_e32 v4, 0x7c, v4, vcc_lo
; %bb.1923:
	s_or_b32 exec_lo, exec_lo, s3
	v_lshrrev_b32_e32 v8, 24, v3
	v_and_or_b32 v4, 0x80, v8, v4
	global_store_byte v[5:6], v4, off
.LBB18_1924:
	s_mov_b32 s3, 0
	s_mov_b32 s4, -1
.LBB18_1925:
	s_andn2_b32 vcc_lo, exec_lo, s3
	s_mov_b32 s3, 0
	s_cbranch_vccnz .LBB18_1932
; %bb.1926:
	s_cmp_gt_i32 s2, 14
	s_mov_b32 s3, -1
	s_cbranch_scc0 .LBB18_1930
; %bb.1927:
	s_cmp_eq_u32 s2, 15
	s_mov_b32 s0, -1
	s_cbranch_scc0 .LBB18_1929
; %bb.1928:
	v_bfe_u32 v4, v3, 16, 1
	v_cmp_o_f32_e32 vcc_lo, v3, v3
	v_mov_b32_e32 v8, 0x7fc0
	s_mov_b32 s0, 0
	s_mov_b32 s4, -1
	v_add3_u32 v4, v3, v4, 0x7fff
	v_cndmask_b32_sdwa v4, v8, v4, vcc_lo dst_sel:DWORD dst_unused:UNUSED_PAD src0_sel:DWORD src1_sel:WORD_1
	global_store_short v[5:6], v4, off
.LBB18_1929:
	s_mov_b32 s3, 0
.LBB18_1930:
	s_and_b32 vcc_lo, exec_lo, s3
	s_mov_b32 s3, 0
	s_cbranch_vccz .LBB18_1932
; %bb.1931:
	s_cmp_lg_u32 s2, 11
	s_mov_b32 s3, -1
	s_cselect_b32 s0, -1, 0
.LBB18_1932:
	s_and_b32 vcc_lo, exec_lo, s0
	s_cbranch_vccnz .LBB18_2182
; %bb.1933:
	s_andn2_b32 vcc_lo, exec_lo, s3
	s_cbranch_vccnz .LBB18_1935
.LBB18_1934:
	v_cmp_neq_f32_e32 vcc_lo, 0, v3
	s_mov_b32 s4, -1
	v_cndmask_b32_e64 v4, 0, 1, vcc_lo
	global_store_byte v[5:6], v4, off
.LBB18_1935:
	s_mov_b32 s0, 0
	s_branch .LBB18_1937
.LBB18_1936:
	s_mov_b32 s0, -1
	s_mov_b32 s4, 0
.LBB18_1937:
	s_and_b32 vcc_lo, exec_lo, s0
	s_cbranch_vccz .LBB18_1976
; %bb.1938:
	s_and_b32 s0, 0xffff, s6
	s_mov_b32 s2, -1
	s_cmp_lt_i32 s0, 5
	s_cbranch_scc1 .LBB18_1959
; %bb.1939:
	s_cmp_lt_i32 s0, 8
	s_cbranch_scc1 .LBB18_1949
; %bb.1940:
	;; [unrolled: 3-line block ×3, first 2 shown]
	s_cmp_gt_i32 s0, 9
	s_cbranch_scc0 .LBB18_1943
; %bb.1942:
	v_cvt_f64_f32_e32 v[8:9], v3
	v_mov_b32_e32 v10, 0
	s_mov_b32 s2, 0
	v_mov_b32_e32 v11, v10
	global_store_dwordx4 v[5:6], v[8:11], off
.LBB18_1943:
	s_andn2_b32 vcc_lo, exec_lo, s2
	s_cbranch_vccnz .LBB18_1945
; %bb.1944:
	v_mov_b32_e32 v4, 0
	global_store_dwordx2 v[5:6], v[3:4], off
.LBB18_1945:
	s_mov_b32 s2, 0
.LBB18_1946:
	s_andn2_b32 vcc_lo, exec_lo, s2
	s_cbranch_vccnz .LBB18_1948
; %bb.1947:
	v_cvt_f16_f32_e32 v4, v3
	v_and_b32_e32 v4, 0xffff, v4
	global_store_dword v[5:6], v4, off
.LBB18_1948:
	s_mov_b32 s2, 0
.LBB18_1949:
	s_andn2_b32 vcc_lo, exec_lo, s2
	s_cbranch_vccnz .LBB18_1958
; %bb.1950:
	s_cmp_lt_i32 s0, 6
	s_mov_b32 s2, -1
	s_cbranch_scc1 .LBB18_1956
; %bb.1951:
	s_cmp_gt_i32 s0, 6
	s_cbranch_scc0 .LBB18_1953
; %bb.1952:
	v_cvt_f64_f32_e32 v[8:9], v3
	s_mov_b32 s2, 0
	global_store_dwordx2 v[5:6], v[8:9], off
.LBB18_1953:
	s_andn2_b32 vcc_lo, exec_lo, s2
	s_cbranch_vccnz .LBB18_1955
; %bb.1954:
	global_store_dword v[5:6], v3, off
.LBB18_1955:
	s_mov_b32 s2, 0
.LBB18_1956:
	s_andn2_b32 vcc_lo, exec_lo, s2
	s_cbranch_vccnz .LBB18_1958
; %bb.1957:
	v_cvt_f16_f32_e32 v4, v3
	global_store_short v[5:6], v4, off
.LBB18_1958:
	s_mov_b32 s2, 0
.LBB18_1959:
	s_andn2_b32 vcc_lo, exec_lo, s2
	s_cbranch_vccnz .LBB18_1975
; %bb.1960:
	s_cmp_lt_i32 s0, 2
	s_mov_b32 s2, -1
	s_cbranch_scc1 .LBB18_1970
; %bb.1961:
	s_cmp_lt_i32 s0, 3
	s_cbranch_scc1 .LBB18_1967
; %bb.1962:
	s_cmp_gt_i32 s0, 3
	s_cbranch_scc0 .LBB18_1964
; %bb.1963:
	v_trunc_f32_e32 v4, v3
	s_mov_b32 s2, 0
	v_mul_f32_e64 v8, 0x2f800000, |v4|
	v_floor_f32_e32 v8, v8
	v_fma_f32 v9, 0xcf800000, v8, |v4|
	v_ashrrev_i32_e32 v4, 31, v4
	v_cvt_u32_f32_e32 v8, v8
	v_cvt_u32_f32_e32 v9, v9
	v_xor_b32_e32 v10, v8, v4
	v_xor_b32_e32 v9, v9, v4
	v_sub_co_u32 v8, vcc_lo, v9, v4
	v_sub_co_ci_u32_e64 v9, null, v10, v4, vcc_lo
	global_store_dwordx2 v[5:6], v[8:9], off
.LBB18_1964:
	s_andn2_b32 vcc_lo, exec_lo, s2
	s_cbranch_vccnz .LBB18_1966
; %bb.1965:
	v_cvt_i32_f32_e32 v4, v3
	global_store_dword v[5:6], v4, off
.LBB18_1966:
	s_mov_b32 s2, 0
.LBB18_1967:
	s_andn2_b32 vcc_lo, exec_lo, s2
	s_cbranch_vccnz .LBB18_1969
; %bb.1968:
	v_cvt_i32_f32_e32 v4, v3
	global_store_short v[5:6], v4, off
.LBB18_1969:
	s_mov_b32 s2, 0
.LBB18_1970:
	s_andn2_b32 vcc_lo, exec_lo, s2
	s_cbranch_vccnz .LBB18_1975
; %bb.1971:
	s_cmp_gt_i32 s0, 0
	s_mov_b32 s0, -1
	s_cbranch_scc0 .LBB18_1973
; %bb.1972:
	v_cvt_i32_f32_e32 v4, v3
	s_mov_b32 s0, 0
	global_store_byte v[5:6], v4, off
.LBB18_1973:
	s_andn2_b32 vcc_lo, exec_lo, s0
	s_cbranch_vccnz .LBB18_1975
; %bb.1974:
	v_trunc_f32_e32 v3, v3
	v_mul_f32_e64 v4, 0x2f800000, |v3|
	v_floor_f32_e32 v4, v4
	v_fma_f32 v4, 0xcf800000, v4, |v3|
	v_ashrrev_i32_e32 v3, 31, v3
	v_cvt_u32_f32_e32 v4, v4
	v_xor_b32_e32 v4, v4, v3
	v_sub_nc_u32_e32 v3, v4, v3
	global_store_byte v[5:6], v3, off
.LBB18_1975:
	s_mov_b32 s4, -1
.LBB18_1976:
	s_andn2_b32 vcc_lo, exec_lo, s4
	s_cbranch_vccnz .LBB18_2172
; %bb.1977:
	v_add_co_u32 v3, s0, s8, v2
	v_add_co_ci_u32_e64 v4, null, s9, 0, s0
	s_cmp_lt_i32 s6, 11
	s_cbranch_scc1 .LBB18_2055
; %bb.1978:
	s_and_b32 s2, 0xffff, s6
	s_mov_b32 s5, -1
	s_mov_b32 s3, 0
	s_cmp_gt_i32 s2, 25
	s_mov_b32 s4, 0
	s_mov_b32 s0, 0
	s_cbranch_scc0 .LBB18_2011
; %bb.1979:
	s_cmp_gt_i32 s2, 28
	s_cbranch_scc0 .LBB18_1994
; %bb.1980:
	s_cmp_gt_i32 s2, 43
	;; [unrolled: 3-line block ×3, first 2 shown]
	s_cbranch_scc0 .LBB18_1984
; %bb.1982:
	s_mov_b32 s0, -1
	s_mov_b32 s5, 0
	s_cmp_eq_u32 s2, 46
	s_cbranch_scc0 .LBB18_1984
; %bb.1983:
	v_bfe_u32 v2, v1, 16, 1
	v_cmp_o_f32_e32 vcc_lo, v1, v1
	v_mov_b32_e32 v5, 0x7fc0
	s_mov_b32 s0, 0
	s_mov_b32 s4, -1
	v_add3_u32 v2, v1, v2, 0x7fff
	v_cndmask_b32_sdwa v2, v5, v2, vcc_lo dst_sel:DWORD dst_unused:UNUSED_PAD src0_sel:DWORD src1_sel:WORD_1
	global_store_dword v[3:4], v2, off
.LBB18_1984:
	s_and_b32 vcc_lo, exec_lo, s5
	s_cbranch_vccz .LBB18_1989
; %bb.1985:
	s_cmp_eq_u32 s2, 44
	s_mov_b32 s0, -1
	s_cbranch_scc0 .LBB18_1989
; %bb.1986:
	v_bfe_u32 v5, v1, 23, 8
	v_mov_b32_e32 v2, 0xff
	s_mov_b32 s4, exec_lo
	v_cmpx_ne_u32_e32 0xff, v5
	s_cbranch_execz .LBB18_1988
; %bb.1987:
	v_and_b32_e32 v2, 0x400000, v1
	v_and_or_b32 v5, 0x3fffff, v1, v5
	v_cmp_ne_u32_e32 vcc_lo, 0, v2
	v_cmp_ne_u32_e64 s0, 0, v5
	v_lshrrev_b32_e32 v2, 23, v1
	s_and_b32 s0, vcc_lo, s0
	v_cndmask_b32_e64 v5, 0, 1, s0
	v_add_nc_u32_e32 v2, v2, v5
.LBB18_1988:
	s_or_b32 exec_lo, exec_lo, s4
	s_mov_b32 s0, 0
	s_mov_b32 s4, -1
	global_store_byte v[3:4], v2, off
.LBB18_1989:
	s_mov_b32 s5, 0
.LBB18_1990:
	s_and_b32 vcc_lo, exec_lo, s5
	s_cbranch_vccz .LBB18_1993
; %bb.1991:
	s_cmp_eq_u32 s2, 29
	s_mov_b32 s0, -1
	s_cbranch_scc0 .LBB18_1993
; %bb.1992:
	v_trunc_f32_e32 v2, v1
	s_mov_b32 s0, 0
	s_mov_b32 s4, -1
	v_mul_f32_e32 v5, 0x2f800000, v2
	v_floor_f32_e32 v5, v5
	v_fmamk_f32 v2, v5, 0xcf800000, v2
	v_cvt_u32_f32_e32 v6, v5
	v_cvt_u32_f32_e32 v5, v2
	global_store_dwordx2 v[3:4], v[5:6], off
.LBB18_1993:
	s_mov_b32 s5, 0
.LBB18_1994:
	s_and_b32 vcc_lo, exec_lo, s5
	s_cbranch_vccz .LBB18_2010
; %bb.1995:
	s_cmp_lt_i32 s2, 27
	s_mov_b32 s4, -1
	s_cbranch_scc1 .LBB18_2001
; %bb.1996:
	v_cvt_u32_f32_e32 v2, v1
	s_cmp_gt_i32 s2, 27
	s_cbranch_scc0 .LBB18_1998
; %bb.1997:
	s_mov_b32 s4, 0
	global_store_dword v[3:4], v2, off
.LBB18_1998:
	s_andn2_b32 vcc_lo, exec_lo, s4
	s_cbranch_vccnz .LBB18_2000
; %bb.1999:
	global_store_short v[3:4], v2, off
.LBB18_2000:
	s_mov_b32 s4, 0
.LBB18_2001:
	s_andn2_b32 vcc_lo, exec_lo, s4
	s_cbranch_vccnz .LBB18_2009
; %bb.2002:
	v_and_b32_e32 v2, 0x7fffffff, v1
	v_mov_b32_e32 v5, 0x80
	s_mov_b32 s4, exec_lo
	v_cmpx_gt_u32_e32 0x43800000, v2
	s_cbranch_execz .LBB18_2008
; %bb.2003:
	v_cmp_lt_u32_e32 vcc_lo, 0x3bffffff, v2
	s_mov_b32 s5, 0
                                        ; implicit-def: $vgpr2
	s_and_saveexec_b32 s7, vcc_lo
	s_xor_b32 s7, exec_lo, s7
	s_cbranch_execz .LBB18_2185
; %bb.2004:
	v_bfe_u32 v2, v1, 20, 1
	s_mov_b32 s5, exec_lo
	v_add3_u32 v2, v1, v2, 0x487ffff
	v_lshrrev_b32_e32 v2, 20, v2
	s_andn2_saveexec_b32 s7, s7
	s_cbranch_execnz .LBB18_2186
.LBB18_2005:
	s_or_b32 exec_lo, exec_lo, s7
	v_mov_b32_e32 v5, 0
	s_and_saveexec_b32 s7, s5
.LBB18_2006:
	v_lshrrev_b32_e32 v5, 24, v1
	v_and_or_b32 v5, 0x80, v5, v2
.LBB18_2007:
	s_or_b32 exec_lo, exec_lo, s7
.LBB18_2008:
	s_or_b32 exec_lo, exec_lo, s4
	global_store_byte v[3:4], v5, off
.LBB18_2009:
	s_mov_b32 s4, -1
.LBB18_2010:
	s_mov_b32 s5, 0
.LBB18_2011:
	s_and_b32 vcc_lo, exec_lo, s5
	s_cbranch_vccz .LBB18_2051
; %bb.2012:
	s_cmp_gt_i32 s2, 22
	s_mov_b32 s3, -1
	s_cbranch_scc0 .LBB18_2044
; %bb.2013:
	s_cmp_lt_i32 s2, 24
	s_cbranch_scc1 .LBB18_2033
; %bb.2014:
	s_cmp_gt_i32 s2, 24
	s_cbranch_scc0 .LBB18_2022
; %bb.2015:
	v_and_b32_e32 v2, 0x7fffffff, v1
	v_mov_b32_e32 v5, 0x80
	s_mov_b32 s3, exec_lo
	v_cmpx_gt_u32_e32 0x47800000, v2
	s_cbranch_execz .LBB18_2021
; %bb.2016:
	v_cmp_lt_u32_e32 vcc_lo, 0x37ffffff, v2
	s_mov_b32 s4, 0
                                        ; implicit-def: $vgpr2
	s_and_saveexec_b32 s5, vcc_lo
	s_xor_b32 s5, exec_lo, s5
	s_cbranch_execz .LBB18_2188
; %bb.2017:
	v_bfe_u32 v2, v1, 21, 1
	s_mov_b32 s4, exec_lo
	v_add3_u32 v2, v1, v2, 0x88fffff
	v_lshrrev_b32_e32 v2, 21, v2
	s_andn2_saveexec_b32 s5, s5
	s_cbranch_execnz .LBB18_2189
.LBB18_2018:
	s_or_b32 exec_lo, exec_lo, s5
	v_mov_b32_e32 v5, 0
	s_and_saveexec_b32 s5, s4
.LBB18_2019:
	v_lshrrev_b32_e32 v5, 24, v1
	v_and_or_b32 v5, 0x80, v5, v2
.LBB18_2020:
	s_or_b32 exec_lo, exec_lo, s5
.LBB18_2021:
	s_or_b32 exec_lo, exec_lo, s3
	s_mov_b32 s3, 0
	global_store_byte v[3:4], v5, off
.LBB18_2022:
	s_and_b32 vcc_lo, exec_lo, s3
	s_cbranch_vccz .LBB18_2032
; %bb.2023:
	v_and_b32_e32 v5, 0x7fffffff, v1
	s_mov_b32 s3, exec_lo
                                        ; implicit-def: $vgpr2
	v_cmpx_gt_u32_e32 0x43f00000, v5
	s_xor_b32 s3, exec_lo, s3
	s_cbranch_execz .LBB18_2029
; %bb.2024:
	s_mov_b32 s4, exec_lo
                                        ; implicit-def: $vgpr2
	v_cmpx_lt_u32_e32 0x3c7fffff, v5
	s_xor_b32 s4, exec_lo, s4
; %bb.2025:
	v_bfe_u32 v2, v1, 20, 1
	v_add3_u32 v2, v1, v2, 0x407ffff
	v_and_b32_e32 v5, 0xff00000, v2
	v_lshrrev_b32_e32 v2, 20, v2
	v_cmp_ne_u32_e32 vcc_lo, 0x7f00000, v5
	v_cndmask_b32_e32 v2, 0x7e, v2, vcc_lo
; %bb.2026:
	s_andn2_saveexec_b32 s4, s4
; %bb.2027:
	v_add_f32_e64 v2, 0x46800000, |v1|
; %bb.2028:
	s_or_b32 exec_lo, exec_lo, s4
                                        ; implicit-def: $vgpr5
.LBB18_2029:
	s_andn2_saveexec_b32 s3, s3
; %bb.2030:
	v_mov_b32_e32 v2, 0x7f
	v_cmp_lt_u32_e32 vcc_lo, 0x7f800000, v5
	v_cndmask_b32_e32 v2, 0x7e, v2, vcc_lo
; %bb.2031:
	s_or_b32 exec_lo, exec_lo, s3
	v_lshrrev_b32_e32 v5, 24, v1
	v_and_or_b32 v2, 0x80, v5, v2
	global_store_byte v[3:4], v2, off
.LBB18_2032:
	s_mov_b32 s3, 0
.LBB18_2033:
	s_andn2_b32 vcc_lo, exec_lo, s3
	s_cbranch_vccnz .LBB18_2043
; %bb.2034:
	v_and_b32_e32 v5, 0x7fffffff, v1
	s_mov_b32 s3, exec_lo
                                        ; implicit-def: $vgpr2
	v_cmpx_gt_u32_e32 0x47800000, v5
	s_xor_b32 s3, exec_lo, s3
	s_cbranch_execz .LBB18_2040
; %bb.2035:
	s_mov_b32 s4, exec_lo
                                        ; implicit-def: $vgpr2
	v_cmpx_lt_u32_e32 0x387fffff, v5
	s_xor_b32 s4, exec_lo, s4
; %bb.2036:
	v_bfe_u32 v2, v1, 21, 1
	v_add3_u32 v2, v1, v2, 0x80fffff
	v_lshrrev_b32_e32 v2, 21, v2
; %bb.2037:
	s_andn2_saveexec_b32 s4, s4
; %bb.2038:
	v_add_f32_e64 v2, 0x43000000, |v1|
; %bb.2039:
	s_or_b32 exec_lo, exec_lo, s4
                                        ; implicit-def: $vgpr5
.LBB18_2040:
	s_andn2_saveexec_b32 s3, s3
; %bb.2041:
	v_mov_b32_e32 v2, 0x7f
	v_cmp_lt_u32_e32 vcc_lo, 0x7f800000, v5
	v_cndmask_b32_e32 v2, 0x7c, v2, vcc_lo
; %bb.2042:
	s_or_b32 exec_lo, exec_lo, s3
	v_lshrrev_b32_e32 v5, 24, v1
	v_and_or_b32 v2, 0x80, v5, v2
	global_store_byte v[3:4], v2, off
.LBB18_2043:
	s_mov_b32 s3, 0
	s_mov_b32 s4, -1
.LBB18_2044:
	s_andn2_b32 vcc_lo, exec_lo, s3
	s_mov_b32 s3, 0
	s_cbranch_vccnz .LBB18_2051
; %bb.2045:
	s_cmp_gt_i32 s2, 14
	s_mov_b32 s3, -1
	s_cbranch_scc0 .LBB18_2049
; %bb.2046:
	s_cmp_eq_u32 s2, 15
	s_mov_b32 s0, -1
	s_cbranch_scc0 .LBB18_2048
; %bb.2047:
	v_bfe_u32 v2, v1, 16, 1
	v_cmp_o_f32_e32 vcc_lo, v1, v1
	v_mov_b32_e32 v5, 0x7fc0
	s_mov_b32 s0, 0
	s_mov_b32 s4, -1
	v_add3_u32 v2, v1, v2, 0x7fff
	v_cndmask_b32_sdwa v2, v5, v2, vcc_lo dst_sel:DWORD dst_unused:UNUSED_PAD src0_sel:DWORD src1_sel:WORD_1
	global_store_short v[3:4], v2, off
.LBB18_2048:
	s_mov_b32 s3, 0
.LBB18_2049:
	s_and_b32 vcc_lo, exec_lo, s3
	s_mov_b32 s3, 0
	s_cbranch_vccz .LBB18_2051
; %bb.2050:
	s_cmp_lg_u32 s2, 11
	s_mov_b32 s3, -1
	s_cselect_b32 s0, -1, 0
.LBB18_2051:
	s_and_b32 vcc_lo, exec_lo, s0
	s_cbranch_vccnz .LBB18_2187
; %bb.2052:
	s_andn2_b32 vcc_lo, exec_lo, s3
	s_cbranch_vccnz .LBB18_2054
.LBB18_2053:
	v_cmp_neq_f32_e32 vcc_lo, 0, v1
	s_mov_b32 s4, -1
	v_cndmask_b32_e64 v2, 0, 1, vcc_lo
	global_store_byte v[3:4], v2, off
.LBB18_2054:
	s_mov_b32 s0, 0
	s_branch .LBB18_2056
.LBB18_2055:
	s_mov_b32 s0, -1
	s_mov_b32 s4, 0
.LBB18_2056:
	s_and_b32 vcc_lo, exec_lo, s0
	s_cbranch_vccz .LBB18_2095
; %bb.2057:
	s_and_b32 s0, 0xffff, s6
	s_mov_b32 s2, -1
	s_cmp_lt_i32 s0, 5
	s_cbranch_scc1 .LBB18_2078
; %bb.2058:
	s_cmp_lt_i32 s0, 8
	s_cbranch_scc1 .LBB18_2068
; %bb.2059:
	;; [unrolled: 3-line block ×3, first 2 shown]
	s_cmp_gt_i32 s0, 9
	s_cbranch_scc0 .LBB18_2062
; %bb.2061:
	v_cvt_f64_f32_e32 v[8:9], v1
	v_mov_b32_e32 v10, 0
	s_mov_b32 s2, 0
	v_mov_b32_e32 v11, v10
	global_store_dwordx4 v[3:4], v[8:11], off
.LBB18_2062:
	s_andn2_b32 vcc_lo, exec_lo, s2
	s_cbranch_vccnz .LBB18_2064
; %bb.2063:
	v_mov_b32_e32 v2, 0
	global_store_dwordx2 v[3:4], v[1:2], off
.LBB18_2064:
	s_mov_b32 s2, 0
.LBB18_2065:
	s_andn2_b32 vcc_lo, exec_lo, s2
	s_cbranch_vccnz .LBB18_2067
; %bb.2066:
	v_cvt_f16_f32_e32 v2, v1
	v_and_b32_e32 v2, 0xffff, v2
	global_store_dword v[3:4], v2, off
.LBB18_2067:
	s_mov_b32 s2, 0
.LBB18_2068:
	s_andn2_b32 vcc_lo, exec_lo, s2
	s_cbranch_vccnz .LBB18_2077
; %bb.2069:
	s_cmp_lt_i32 s0, 6
	s_mov_b32 s2, -1
	s_cbranch_scc1 .LBB18_2075
; %bb.2070:
	s_cmp_gt_i32 s0, 6
	s_cbranch_scc0 .LBB18_2072
; %bb.2071:
	v_cvt_f64_f32_e32 v[5:6], v1
	s_mov_b32 s2, 0
	global_store_dwordx2 v[3:4], v[5:6], off
.LBB18_2072:
	s_andn2_b32 vcc_lo, exec_lo, s2
	s_cbranch_vccnz .LBB18_2074
; %bb.2073:
	global_store_dword v[3:4], v1, off
.LBB18_2074:
	s_mov_b32 s2, 0
.LBB18_2075:
	s_andn2_b32 vcc_lo, exec_lo, s2
	s_cbranch_vccnz .LBB18_2077
; %bb.2076:
	v_cvt_f16_f32_e32 v2, v1
	global_store_short v[3:4], v2, off
.LBB18_2077:
	s_mov_b32 s2, 0
.LBB18_2078:
	s_andn2_b32 vcc_lo, exec_lo, s2
	s_cbranch_vccnz .LBB18_2094
; %bb.2079:
	s_cmp_lt_i32 s0, 2
	s_mov_b32 s2, -1
	s_cbranch_scc1 .LBB18_2089
; %bb.2080:
	s_cmp_lt_i32 s0, 3
	s_cbranch_scc1 .LBB18_2086
; %bb.2081:
	s_cmp_gt_i32 s0, 3
	s_cbranch_scc0 .LBB18_2083
; %bb.2082:
	v_trunc_f32_e32 v2, v1
	s_mov_b32 s2, 0
	v_mul_f32_e64 v5, 0x2f800000, |v2|
	v_floor_f32_e32 v5, v5
	v_fma_f32 v6, 0xcf800000, v5, |v2|
	v_ashrrev_i32_e32 v2, 31, v2
	v_cvt_u32_f32_e32 v5, v5
	v_cvt_u32_f32_e32 v6, v6
	v_xor_b32_e32 v8, v5, v2
	v_xor_b32_e32 v6, v6, v2
	v_sub_co_u32 v5, vcc_lo, v6, v2
	v_sub_co_ci_u32_e64 v6, null, v8, v2, vcc_lo
	global_store_dwordx2 v[3:4], v[5:6], off
.LBB18_2083:
	s_andn2_b32 vcc_lo, exec_lo, s2
	s_cbranch_vccnz .LBB18_2085
; %bb.2084:
	v_cvt_i32_f32_e32 v2, v1
	global_store_dword v[3:4], v2, off
.LBB18_2085:
	s_mov_b32 s2, 0
.LBB18_2086:
	s_andn2_b32 vcc_lo, exec_lo, s2
	s_cbranch_vccnz .LBB18_2088
; %bb.2087:
	v_cvt_i32_f32_e32 v2, v1
	global_store_short v[3:4], v2, off
.LBB18_2088:
	s_mov_b32 s2, 0
.LBB18_2089:
	s_andn2_b32 vcc_lo, exec_lo, s2
	s_cbranch_vccnz .LBB18_2094
; %bb.2090:
	s_cmp_gt_i32 s0, 0
	s_mov_b32 s0, -1
	s_cbranch_scc0 .LBB18_2092
; %bb.2091:
	v_cvt_i32_f32_e32 v2, v1
	s_mov_b32 s0, 0
	global_store_byte v[3:4], v2, off
.LBB18_2092:
	s_andn2_b32 vcc_lo, exec_lo, s0
	s_cbranch_vccnz .LBB18_2094
; %bb.2093:
	v_trunc_f32_e32 v1, v1
	v_mul_f32_e64 v2, 0x2f800000, |v1|
	v_floor_f32_e32 v2, v2
	v_fma_f32 v2, 0xcf800000, v2, |v1|
	v_ashrrev_i32_e32 v1, 31, v1
	v_cvt_u32_f32_e32 v2, v2
	v_xor_b32_e32 v2, v2, v1
	v_sub_nc_u32_e32 v1, v2, v1
	global_store_byte v[3:4], v1, off
.LBB18_2094:
	s_mov_b32 s4, -1
.LBB18_2095:
	s_andn2_b32 vcc_lo, exec_lo, s4
	s_cbranch_vccnz .LBB18_2172
; %bb.2096:
	v_add_co_u32 v0, s0, s8, v0
	v_add_co_ci_u32_e64 v1, null, s9, 0, s0
	s_cmp_lt_i32 s6, 11
	s_cbranch_scc1 .LBB18_2173
; %bb.2097:
	s_and_b32 s2, 0xffff, s6
	s_mov_b32 s4, -1
	s_mov_b32 s3, 0
	s_cmp_gt_i32 s2, 25
	s_mov_b32 s0, 0
	s_cbranch_scc0 .LBB18_2130
; %bb.2098:
	s_cmp_gt_i32 s2, 28
	s_cbranch_scc0 .LBB18_2114
; %bb.2099:
	s_cmp_gt_i32 s2, 43
	;; [unrolled: 3-line block ×3, first 2 shown]
	s_cbranch_scc0 .LBB18_2104
; %bb.2101:
	s_cmp_eq_u32 s2, 46
	s_mov_b32 s0, -1
	s_cbranch_scc0 .LBB18_2103
; %bb.2102:
	v_bfe_u32 v2, v7, 16, 1
	v_cmp_o_f32_e32 vcc_lo, v7, v7
	v_mov_b32_e32 v3, 0x7fc0
	s_mov_b32 s0, 0
	v_add3_u32 v2, v7, v2, 0x7fff
	v_cndmask_b32_sdwa v2, v3, v2, vcc_lo dst_sel:DWORD dst_unused:UNUSED_PAD src0_sel:DWORD src1_sel:WORD_1
	global_store_dword v[0:1], v2, off
.LBB18_2103:
	s_mov_b32 s4, 0
.LBB18_2104:
	s_and_b32 vcc_lo, exec_lo, s4
	s_cbranch_vccz .LBB18_2109
; %bb.2105:
	s_cmp_eq_u32 s2, 44
	s_mov_b32 s0, -1
	s_cbranch_scc0 .LBB18_2109
; %bb.2106:
	v_bfe_u32 v3, v7, 23, 8
	v_mov_b32_e32 v2, 0xff
	s_mov_b32 s4, exec_lo
	v_cmpx_ne_u32_e32 0xff, v3
	s_cbranch_execz .LBB18_2108
; %bb.2107:
	v_and_b32_e32 v2, 0x400000, v7
	v_and_or_b32 v3, 0x3fffff, v7, v3
	v_cmp_ne_u32_e32 vcc_lo, 0, v2
	v_cmp_ne_u32_e64 s0, 0, v3
	v_lshrrev_b32_e32 v2, 23, v7
	s_and_b32 s0, vcc_lo, s0
	v_cndmask_b32_e64 v3, 0, 1, s0
	v_add_nc_u32_e32 v2, v2, v3
.LBB18_2108:
	s_or_b32 exec_lo, exec_lo, s4
	s_mov_b32 s0, 0
	global_store_byte v[0:1], v2, off
.LBB18_2109:
	s_mov_b32 s4, 0
.LBB18_2110:
	s_and_b32 vcc_lo, exec_lo, s4
	s_cbranch_vccz .LBB18_2113
; %bb.2111:
	s_cmp_eq_u32 s2, 29
	s_mov_b32 s0, -1
	s_cbranch_scc0 .LBB18_2113
; %bb.2112:
	v_trunc_f32_e32 v2, v7
	s_mov_b32 s0, 0
	v_mul_f32_e32 v3, 0x2f800000, v2
	v_floor_f32_e32 v3, v3
	v_fmamk_f32 v2, v3, 0xcf800000, v2
	v_cvt_u32_f32_e32 v3, v3
	v_cvt_u32_f32_e32 v2, v2
	global_store_dwordx2 v[0:1], v[2:3], off
.LBB18_2113:
	s_mov_b32 s4, 0
.LBB18_2114:
	s_and_b32 vcc_lo, exec_lo, s4
	s_cbranch_vccz .LBB18_2129
; %bb.2115:
	s_cmp_lt_i32 s2, 27
	s_mov_b32 s4, -1
	s_cbranch_scc1 .LBB18_2121
; %bb.2116:
	s_cmp_gt_i32 s2, 27
	s_cbranch_scc0 .LBB18_2118
; %bb.2117:
	v_cvt_u32_f32_e32 v2, v7
	s_mov_b32 s4, 0
	global_store_dword v[0:1], v2, off
.LBB18_2118:
	s_andn2_b32 vcc_lo, exec_lo, s4
	s_cbranch_vccnz .LBB18_2120
; %bb.2119:
	v_cvt_u32_f32_e32 v2, v7
	global_store_short v[0:1], v2, off
.LBB18_2120:
	s_mov_b32 s4, 0
.LBB18_2121:
	s_andn2_b32 vcc_lo, exec_lo, s4
	s_cbranch_vccnz .LBB18_2129
; %bb.2122:
	v_and_b32_e32 v2, 0x7fffffff, v7
	v_mov_b32_e32 v3, 0x80
	s_mov_b32 s4, exec_lo
	v_cmpx_gt_u32_e32 0x43800000, v2
	s_cbranch_execz .LBB18_2128
; %bb.2123:
	v_cmp_lt_u32_e32 vcc_lo, 0x3bffffff, v2
	s_mov_b32 s5, 0
                                        ; implicit-def: $vgpr2
	s_and_saveexec_b32 s7, vcc_lo
	s_xor_b32 s7, exec_lo, s7
	s_cbranch_execz .LBB18_2190
; %bb.2124:
	v_bfe_u32 v2, v7, 20, 1
	s_mov_b32 s5, exec_lo
	v_add3_u32 v2, v7, v2, 0x487ffff
	v_lshrrev_b32_e32 v2, 20, v2
	s_andn2_saveexec_b32 s7, s7
	s_cbranch_execnz .LBB18_2191
.LBB18_2125:
	s_or_b32 exec_lo, exec_lo, s7
	v_mov_b32_e32 v3, 0
	s_and_saveexec_b32 s7, s5
.LBB18_2126:
	v_lshrrev_b32_e32 v3, 24, v7
	v_and_or_b32 v3, 0x80, v3, v2
.LBB18_2127:
	s_or_b32 exec_lo, exec_lo, s7
.LBB18_2128:
	s_or_b32 exec_lo, exec_lo, s4
	global_store_byte v[0:1], v3, off
.LBB18_2129:
	s_mov_b32 s4, 0
.LBB18_2130:
	s_and_b32 vcc_lo, exec_lo, s4
	s_cbranch_vccz .LBB18_2170
; %bb.2131:
	s_cmp_gt_i32 s2, 22
	s_mov_b32 s3, -1
	s_cbranch_scc0 .LBB18_2163
; %bb.2132:
	s_cmp_lt_i32 s2, 24
	s_cbranch_scc1 .LBB18_2152
; %bb.2133:
	s_cmp_gt_i32 s2, 24
	s_cbranch_scc0 .LBB18_2141
; %bb.2134:
	v_and_b32_e32 v2, 0x7fffffff, v7
	v_mov_b32_e32 v3, 0x80
	s_mov_b32 s3, exec_lo
	v_cmpx_gt_u32_e32 0x47800000, v2
	s_cbranch_execz .LBB18_2140
; %bb.2135:
	v_cmp_lt_u32_e32 vcc_lo, 0x37ffffff, v2
	s_mov_b32 s4, 0
                                        ; implicit-def: $vgpr2
	s_and_saveexec_b32 s5, vcc_lo
	s_xor_b32 s5, exec_lo, s5
	s_cbranch_execz .LBB18_2193
; %bb.2136:
	v_bfe_u32 v2, v7, 21, 1
	s_mov_b32 s4, exec_lo
	v_add3_u32 v2, v7, v2, 0x88fffff
	v_lshrrev_b32_e32 v2, 21, v2
	s_andn2_saveexec_b32 s5, s5
	s_cbranch_execnz .LBB18_2194
.LBB18_2137:
	s_or_b32 exec_lo, exec_lo, s5
	v_mov_b32_e32 v3, 0
	s_and_saveexec_b32 s5, s4
.LBB18_2138:
	v_lshrrev_b32_e32 v3, 24, v7
	v_and_or_b32 v3, 0x80, v3, v2
.LBB18_2139:
	s_or_b32 exec_lo, exec_lo, s5
.LBB18_2140:
	s_or_b32 exec_lo, exec_lo, s3
	s_mov_b32 s3, 0
	global_store_byte v[0:1], v3, off
.LBB18_2141:
	s_and_b32 vcc_lo, exec_lo, s3
	s_cbranch_vccz .LBB18_2151
; %bb.2142:
	v_and_b32_e32 v3, 0x7fffffff, v7
	s_mov_b32 s3, exec_lo
                                        ; implicit-def: $vgpr2
	v_cmpx_gt_u32_e32 0x43f00000, v3
	s_xor_b32 s3, exec_lo, s3
	s_cbranch_execz .LBB18_2148
; %bb.2143:
	s_mov_b32 s4, exec_lo
                                        ; implicit-def: $vgpr2
	v_cmpx_lt_u32_e32 0x3c7fffff, v3
	s_xor_b32 s4, exec_lo, s4
; %bb.2144:
	v_bfe_u32 v2, v7, 20, 1
	v_add3_u32 v2, v7, v2, 0x407ffff
	v_and_b32_e32 v3, 0xff00000, v2
	v_lshrrev_b32_e32 v2, 20, v2
	v_cmp_ne_u32_e32 vcc_lo, 0x7f00000, v3
	v_cndmask_b32_e32 v2, 0x7e, v2, vcc_lo
; %bb.2145:
	s_andn2_saveexec_b32 s4, s4
; %bb.2146:
	v_add_f32_e64 v2, 0x46800000, |v7|
; %bb.2147:
	s_or_b32 exec_lo, exec_lo, s4
                                        ; implicit-def: $vgpr3
.LBB18_2148:
	s_andn2_saveexec_b32 s3, s3
; %bb.2149:
	v_mov_b32_e32 v2, 0x7f
	v_cmp_lt_u32_e32 vcc_lo, 0x7f800000, v3
	v_cndmask_b32_e32 v2, 0x7e, v2, vcc_lo
; %bb.2150:
	s_or_b32 exec_lo, exec_lo, s3
	v_lshrrev_b32_e32 v3, 24, v7
	v_and_or_b32 v2, 0x80, v3, v2
	global_store_byte v[0:1], v2, off
.LBB18_2151:
	s_mov_b32 s3, 0
.LBB18_2152:
	s_andn2_b32 vcc_lo, exec_lo, s3
	s_cbranch_vccnz .LBB18_2162
; %bb.2153:
	v_and_b32_e32 v3, 0x7fffffff, v7
	s_mov_b32 s3, exec_lo
                                        ; implicit-def: $vgpr2
	v_cmpx_gt_u32_e32 0x47800000, v3
	s_xor_b32 s3, exec_lo, s3
	s_cbranch_execz .LBB18_2159
; %bb.2154:
	s_mov_b32 s4, exec_lo
                                        ; implicit-def: $vgpr2
	v_cmpx_lt_u32_e32 0x387fffff, v3
	s_xor_b32 s4, exec_lo, s4
; %bb.2155:
	v_bfe_u32 v2, v7, 21, 1
	v_add3_u32 v2, v7, v2, 0x80fffff
	v_lshrrev_b32_e32 v2, 21, v2
; %bb.2156:
	s_andn2_saveexec_b32 s4, s4
; %bb.2157:
	v_add_f32_e64 v2, 0x43000000, |v7|
; %bb.2158:
	s_or_b32 exec_lo, exec_lo, s4
                                        ; implicit-def: $vgpr3
.LBB18_2159:
	s_andn2_saveexec_b32 s3, s3
; %bb.2160:
	v_mov_b32_e32 v2, 0x7f
	v_cmp_lt_u32_e32 vcc_lo, 0x7f800000, v3
	v_cndmask_b32_e32 v2, 0x7c, v2, vcc_lo
; %bb.2161:
	s_or_b32 exec_lo, exec_lo, s3
	v_lshrrev_b32_e32 v3, 24, v7
	v_and_or_b32 v2, 0x80, v3, v2
	global_store_byte v[0:1], v2, off
.LBB18_2162:
	s_mov_b32 s3, 0
.LBB18_2163:
	s_andn2_b32 vcc_lo, exec_lo, s3
	s_mov_b32 s3, 0
	s_cbranch_vccnz .LBB18_2170
; %bb.2164:
	s_cmp_gt_i32 s2, 14
	s_mov_b32 s3, -1
	s_cbranch_scc0 .LBB18_2168
; %bb.2165:
	s_cmp_eq_u32 s2, 15
	s_mov_b32 s0, -1
	s_cbranch_scc0 .LBB18_2167
; %bb.2166:
	v_bfe_u32 v2, v7, 16, 1
	v_cmp_o_f32_e32 vcc_lo, v7, v7
	v_mov_b32_e32 v3, 0x7fc0
	s_mov_b32 s0, 0
	v_add3_u32 v2, v7, v2, 0x7fff
	v_cndmask_b32_sdwa v2, v3, v2, vcc_lo dst_sel:DWORD dst_unused:UNUSED_PAD src0_sel:DWORD src1_sel:WORD_1
	global_store_short v[0:1], v2, off
.LBB18_2167:
	s_mov_b32 s3, 0
.LBB18_2168:
	s_and_b32 vcc_lo, exec_lo, s3
	s_mov_b32 s3, 0
	s_cbranch_vccz .LBB18_2170
; %bb.2169:
	s_cmp_lg_u32 s2, 11
	s_mov_b32 s3, -1
	s_cselect_b32 s0, -1, 0
.LBB18_2170:
	s_and_b32 vcc_lo, exec_lo, s0
	s_cbranch_vccnz .LBB18_2192
.LBB18_2171:
	s_mov_b32 s0, 0
	s_branch .LBB18_1773
.LBB18_2172:
	s_mov_b32 s0, 0
	s_mov_b32 s3, 0
                                        ; implicit-def: $vgpr0_vgpr1
                                        ; implicit-def: $sgpr6
	s_branch .LBB18_1773
.LBB18_2173:
	s_mov_b32 s3, 0
	s_mov_b32 s0, -1
	s_branch .LBB18_1773
.LBB18_2174:
	s_or_b32 s1, s1, exec_lo
	s_trap 2
	s_cbranch_execz .LBB18_1638
	s_branch .LBB18_1639
.LBB18_2175:
	s_andn2_saveexec_b32 s10, s10
	s_cbranch_execz .LBB18_1722
.LBB18_2176:
	v_add_f32_e64 v6, 0x46000000, |v5|
	s_andn2_b32 s7, s7, exec_lo
	v_and_b32_e32 v6, 0xff, v6
	v_cmp_ne_u32_e32 vcc_lo, 0, v6
	s_and_b32 s11, vcc_lo, exec_lo
	s_or_b32 s7, s7, s11
	s_or_b32 exec_lo, exec_lo, s10
	v_mov_b32_e32 v10, 0
	s_and_saveexec_b32 s10, s7
	s_cbranch_execnz .LBB18_1723
	s_branch .LBB18_1724
.LBB18_2177:
	s_or_b32 s1, s1, exec_lo
	s_trap 2
	s_cbranch_execz .LBB18_1770
	s_branch .LBB18_1771
.LBB18_2178:
	s_andn2_saveexec_b32 s7, s7
	s_cbranch_execz .LBB18_1735
.LBB18_2179:
	v_add_f32_e64 v6, 0x42800000, |v5|
	s_andn2_b32 s6, s6, exec_lo
	v_and_b32_e32 v6, 0xff, v6
	v_cmp_ne_u32_e32 vcc_lo, 0, v6
	s_and_b32 s10, vcc_lo, exec_lo
	s_or_b32 s6, s6, s10
	s_or_b32 exec_lo, exec_lo, s7
	v_mov_b32_e32 v10, 0
	s_and_saveexec_b32 s7, s6
	s_cbranch_execnz .LBB18_1736
	s_branch .LBB18_1737
.LBB18_2180:
	s_andn2_saveexec_b32 s7, s7
	s_cbranch_execz .LBB18_1886
.LBB18_2181:
	v_add_f32_e64 v4, 0x46000000, |v3|
	s_andn2_b32 s5, s5, exec_lo
	v_and_b32_e32 v4, 0xff, v4
	v_cmp_ne_u32_e32 vcc_lo, 0, v4
	s_and_b32 s10, vcc_lo, exec_lo
	s_or_b32 s5, s5, s10
	s_or_b32 exec_lo, exec_lo, s7
	v_mov_b32_e32 v8, 0
	s_and_saveexec_b32 s7, s5
	s_cbranch_execnz .LBB18_1887
	s_branch .LBB18_1888
.LBB18_2182:
	s_or_b32 s1, s1, exec_lo
	s_trap 2
	s_cbranch_execz .LBB18_1934
	s_branch .LBB18_1935
.LBB18_2183:
	s_andn2_saveexec_b32 s5, s5
	s_cbranch_execz .LBB18_1899
.LBB18_2184:
	v_add_f32_e64 v4, 0x42800000, |v3|
	s_andn2_b32 s4, s4, exec_lo
	v_and_b32_e32 v4, 0xff, v4
	v_cmp_ne_u32_e32 vcc_lo, 0, v4
	s_and_b32 s7, vcc_lo, exec_lo
	s_or_b32 s4, s4, s7
	s_or_b32 exec_lo, exec_lo, s5
	v_mov_b32_e32 v8, 0
	s_and_saveexec_b32 s5, s4
	s_cbranch_execnz .LBB18_1900
	s_branch .LBB18_1901
.LBB18_2185:
	s_andn2_saveexec_b32 s7, s7
	s_cbranch_execz .LBB18_2005
.LBB18_2186:
	v_add_f32_e64 v2, 0x46000000, |v1|
	s_andn2_b32 s5, s5, exec_lo
	v_and_b32_e32 v2, 0xff, v2
	v_cmp_ne_u32_e32 vcc_lo, 0, v2
	s_and_b32 s10, vcc_lo, exec_lo
	s_or_b32 s5, s5, s10
	s_or_b32 exec_lo, exec_lo, s7
	v_mov_b32_e32 v5, 0
	s_and_saveexec_b32 s7, s5
	s_cbranch_execnz .LBB18_2006
	s_branch .LBB18_2007
.LBB18_2187:
	s_or_b32 s1, s1, exec_lo
	s_trap 2
	s_cbranch_execz .LBB18_2053
	s_branch .LBB18_2054
.LBB18_2188:
	s_andn2_saveexec_b32 s5, s5
	s_cbranch_execz .LBB18_2018
.LBB18_2189:
	v_add_f32_e64 v2, 0x42800000, |v1|
	s_andn2_b32 s4, s4, exec_lo
	v_and_b32_e32 v2, 0xff, v2
	v_cmp_ne_u32_e32 vcc_lo, 0, v2
	s_and_b32 s7, vcc_lo, exec_lo
	s_or_b32 s4, s4, s7
	s_or_b32 exec_lo, exec_lo, s5
	v_mov_b32_e32 v5, 0
	s_and_saveexec_b32 s5, s4
	s_cbranch_execnz .LBB18_2019
	s_branch .LBB18_2020
.LBB18_2190:
	s_andn2_saveexec_b32 s7, s7
	s_cbranch_execz .LBB18_2125
.LBB18_2191:
	v_add_f32_e64 v2, 0x46000000, |v7|
	s_andn2_b32 s5, s5, exec_lo
	v_and_b32_e32 v2, 0xff, v2
	v_cmp_ne_u32_e32 vcc_lo, 0, v2
	s_and_b32 s8, vcc_lo, exec_lo
	s_or_b32 s5, s5, s8
	s_or_b32 exec_lo, exec_lo, s7
	v_mov_b32_e32 v3, 0
	s_and_saveexec_b32 s7, s5
	s_cbranch_execnz .LBB18_2126
	s_branch .LBB18_2127
.LBB18_2192:
	s_mov_b32 s3, 0
	s_or_b32 s1, s1, exec_lo
	s_trap 2
	s_branch .LBB18_2171
.LBB18_2193:
	s_andn2_saveexec_b32 s5, s5
	s_cbranch_execz .LBB18_2137
.LBB18_2194:
	v_add_f32_e64 v2, 0x42800000, |v7|
	s_andn2_b32 s4, s4, exec_lo
	v_and_b32_e32 v2, 0xff, v2
	v_cmp_ne_u32_e32 vcc_lo, 0, v2
	s_and_b32 s7, vcc_lo, exec_lo
	s_or_b32 s4, s4, s7
	s_or_b32 exec_lo, exec_lo, s5
	v_mov_b32_e32 v3, 0
	s_and_saveexec_b32 s5, s4
	s_cbranch_execnz .LBB18_2138
	s_branch .LBB18_2139
	.section	.rodata,"a",@progbits
	.p2align	6, 0x0
	.amdhsa_kernel _ZN2at6native32elementwise_kernel_manual_unrollILi128ELi4EZNS0_15gpu_kernel_implIZZZNS0_12_GLOBAL__N_130modified_bessel_i0_kernel_cudaERNS_18TensorIteratorBaseEENKUlvE_clEvENKUlvE0_clEvEUlfE_EEvS5_RKT_EUlibE0_EEviT1_
		.amdhsa_group_segment_fixed_size 0
		.amdhsa_private_segment_fixed_size 0
		.amdhsa_kernarg_size 360
		.amdhsa_user_sgpr_count 6
		.amdhsa_user_sgpr_private_segment_buffer 1
		.amdhsa_user_sgpr_dispatch_ptr 0
		.amdhsa_user_sgpr_queue_ptr 0
		.amdhsa_user_sgpr_kernarg_segment_ptr 1
		.amdhsa_user_sgpr_dispatch_id 0
		.amdhsa_user_sgpr_flat_scratch_init 0
		.amdhsa_user_sgpr_private_segment_size 0
		.amdhsa_wavefront_size32 1
		.amdhsa_uses_dynamic_stack 0
		.amdhsa_system_sgpr_private_segment_wavefront_offset 0
		.amdhsa_system_sgpr_workgroup_id_x 1
		.amdhsa_system_sgpr_workgroup_id_y 0
		.amdhsa_system_sgpr_workgroup_id_z 0
		.amdhsa_system_sgpr_workgroup_info 0
		.amdhsa_system_vgpr_workitem_id 0
		.amdhsa_next_free_vgpr 19
		.amdhsa_next_free_sgpr 68
		.amdhsa_reserve_vcc 1
		.amdhsa_reserve_flat_scratch 0
		.amdhsa_float_round_mode_32 0
		.amdhsa_float_round_mode_16_64 0
		.amdhsa_float_denorm_mode_32 3
		.amdhsa_float_denorm_mode_16_64 3
		.amdhsa_dx10_clamp 1
		.amdhsa_ieee_mode 1
		.amdhsa_fp16_overflow 0
		.amdhsa_workgroup_processor_mode 1
		.amdhsa_memory_ordered 1
		.amdhsa_forward_progress 1
		.amdhsa_shared_vgpr_count 0
		.amdhsa_exception_fp_ieee_invalid_op 0
		.amdhsa_exception_fp_denorm_src 0
		.amdhsa_exception_fp_ieee_div_zero 0
		.amdhsa_exception_fp_ieee_overflow 0
		.amdhsa_exception_fp_ieee_underflow 0
		.amdhsa_exception_fp_ieee_inexact 0
		.amdhsa_exception_int_div_zero 0
	.end_amdhsa_kernel
	.section	.text._ZN2at6native32elementwise_kernel_manual_unrollILi128ELi4EZNS0_15gpu_kernel_implIZZZNS0_12_GLOBAL__N_130modified_bessel_i0_kernel_cudaERNS_18TensorIteratorBaseEENKUlvE_clEvENKUlvE0_clEvEUlfE_EEvS5_RKT_EUlibE0_EEviT1_,"axG",@progbits,_ZN2at6native32elementwise_kernel_manual_unrollILi128ELi4EZNS0_15gpu_kernel_implIZZZNS0_12_GLOBAL__N_130modified_bessel_i0_kernel_cudaERNS_18TensorIteratorBaseEENKUlvE_clEvENKUlvE0_clEvEUlfE_EEvS5_RKT_EUlibE0_EEviT1_,comdat
.Lfunc_end18:
	.size	_ZN2at6native32elementwise_kernel_manual_unrollILi128ELi4EZNS0_15gpu_kernel_implIZZZNS0_12_GLOBAL__N_130modified_bessel_i0_kernel_cudaERNS_18TensorIteratorBaseEENKUlvE_clEvENKUlvE0_clEvEUlfE_EEvS5_RKT_EUlibE0_EEviT1_, .Lfunc_end18-_ZN2at6native32elementwise_kernel_manual_unrollILi128ELi4EZNS0_15gpu_kernel_implIZZZNS0_12_GLOBAL__N_130modified_bessel_i0_kernel_cudaERNS_18TensorIteratorBaseEENKUlvE_clEvENKUlvE0_clEvEUlfE_EEvS5_RKT_EUlibE0_EEviT1_
                                        ; -- End function
	.set _ZN2at6native32elementwise_kernel_manual_unrollILi128ELi4EZNS0_15gpu_kernel_implIZZZNS0_12_GLOBAL__N_130modified_bessel_i0_kernel_cudaERNS_18TensorIteratorBaseEENKUlvE_clEvENKUlvE0_clEvEUlfE_EEvS5_RKT_EUlibE0_EEviT1_.num_vgpr, 19
	.set _ZN2at6native32elementwise_kernel_manual_unrollILi128ELi4EZNS0_15gpu_kernel_implIZZZNS0_12_GLOBAL__N_130modified_bessel_i0_kernel_cudaERNS_18TensorIteratorBaseEENKUlvE_clEvENKUlvE0_clEvEUlfE_EEvS5_RKT_EUlibE0_EEviT1_.num_agpr, 0
	.set _ZN2at6native32elementwise_kernel_manual_unrollILi128ELi4EZNS0_15gpu_kernel_implIZZZNS0_12_GLOBAL__N_130modified_bessel_i0_kernel_cudaERNS_18TensorIteratorBaseEENKUlvE_clEvENKUlvE0_clEvEUlfE_EEvS5_RKT_EUlibE0_EEviT1_.numbered_sgpr, 68
	.set _ZN2at6native32elementwise_kernel_manual_unrollILi128ELi4EZNS0_15gpu_kernel_implIZZZNS0_12_GLOBAL__N_130modified_bessel_i0_kernel_cudaERNS_18TensorIteratorBaseEENKUlvE_clEvENKUlvE0_clEvEUlfE_EEvS5_RKT_EUlibE0_EEviT1_.num_named_barrier, 0
	.set _ZN2at6native32elementwise_kernel_manual_unrollILi128ELi4EZNS0_15gpu_kernel_implIZZZNS0_12_GLOBAL__N_130modified_bessel_i0_kernel_cudaERNS_18TensorIteratorBaseEENKUlvE_clEvENKUlvE0_clEvEUlfE_EEvS5_RKT_EUlibE0_EEviT1_.private_seg_size, 0
	.set _ZN2at6native32elementwise_kernel_manual_unrollILi128ELi4EZNS0_15gpu_kernel_implIZZZNS0_12_GLOBAL__N_130modified_bessel_i0_kernel_cudaERNS_18TensorIteratorBaseEENKUlvE_clEvENKUlvE0_clEvEUlfE_EEvS5_RKT_EUlibE0_EEviT1_.uses_vcc, 1
	.set _ZN2at6native32elementwise_kernel_manual_unrollILi128ELi4EZNS0_15gpu_kernel_implIZZZNS0_12_GLOBAL__N_130modified_bessel_i0_kernel_cudaERNS_18TensorIteratorBaseEENKUlvE_clEvENKUlvE0_clEvEUlfE_EEvS5_RKT_EUlibE0_EEviT1_.uses_flat_scratch, 0
	.set _ZN2at6native32elementwise_kernel_manual_unrollILi128ELi4EZNS0_15gpu_kernel_implIZZZNS0_12_GLOBAL__N_130modified_bessel_i0_kernel_cudaERNS_18TensorIteratorBaseEENKUlvE_clEvENKUlvE0_clEvEUlfE_EEvS5_RKT_EUlibE0_EEviT1_.has_dyn_sized_stack, 0
	.set _ZN2at6native32elementwise_kernel_manual_unrollILi128ELi4EZNS0_15gpu_kernel_implIZZZNS0_12_GLOBAL__N_130modified_bessel_i0_kernel_cudaERNS_18TensorIteratorBaseEENKUlvE_clEvENKUlvE0_clEvEUlfE_EEvS5_RKT_EUlibE0_EEviT1_.has_recursion, 0
	.set _ZN2at6native32elementwise_kernel_manual_unrollILi128ELi4EZNS0_15gpu_kernel_implIZZZNS0_12_GLOBAL__N_130modified_bessel_i0_kernel_cudaERNS_18TensorIteratorBaseEENKUlvE_clEvENKUlvE0_clEvEUlfE_EEvS5_RKT_EUlibE0_EEviT1_.has_indirect_call, 0
	.section	.AMDGPU.csdata,"",@progbits
; Kernel info:
; codeLenInByte = 48432
; TotalNumSgprs: 70
; NumVgprs: 19
; ScratchSize: 0
; MemoryBound: 1
; FloatMode: 240
; IeeeMode: 1
; LDSByteSize: 0 bytes/workgroup (compile time only)
; SGPRBlocks: 0
; VGPRBlocks: 2
; NumSGPRsForWavesPerEU: 70
; NumVGPRsForWavesPerEU: 19
; Occupancy: 16
; WaveLimiterHint : 1
; COMPUTE_PGM_RSRC2:SCRATCH_EN: 0
; COMPUTE_PGM_RSRC2:USER_SGPR: 6
; COMPUTE_PGM_RSRC2:TRAP_HANDLER: 0
; COMPUTE_PGM_RSRC2:TGID_X_EN: 1
; COMPUTE_PGM_RSRC2:TGID_Y_EN: 0
; COMPUTE_PGM_RSRC2:TGID_Z_EN: 0
; COMPUTE_PGM_RSRC2:TIDIG_COMP_CNT: 0
	.text
	.p2alignl 6, 3214868480
	.fill 48, 4, 3214868480
	.section	.AMDGPU.gpr_maximums,"",@progbits
	.set amdgpu.max_num_vgpr, 38
	.set amdgpu.max_num_agpr, 0
	.set amdgpu.max_num_sgpr, 32
	.text
	.type	__hip_cuid_b3f83b813522097e,@object ; @__hip_cuid_b3f83b813522097e
	.section	.bss,"aw",@nobits
	.globl	__hip_cuid_b3f83b813522097e
__hip_cuid_b3f83b813522097e:
	.byte	0                               ; 0x0
	.size	__hip_cuid_b3f83b813522097e, 1

	.ident	"AMD clang version 22.0.0git (https://github.com/RadeonOpenCompute/llvm-project roc-7.2.4 26084 f58b06dce1f9c15707c5f808fd002e18c2accf7e)"
	.section	".note.GNU-stack","",@progbits
	.addrsig
	.addrsig_sym __hip_cuid_b3f83b813522097e
	.amdgpu_metadata
---
amdhsa.kernels:
  - .args:
      - .offset:         0
        .size:           4
        .value_kind:     by_value
      - .offset:         4
        .size:           1
        .value_kind:     by_value
      - .offset:         8
        .size:           16
        .value_kind:     by_value
    .group_segment_fixed_size: 0
    .kernarg_segment_align: 8
    .kernarg_segment_size: 24
    .language:       OpenCL C
    .language_version:
      - 2
      - 0
    .max_flat_workgroup_size: 256
    .name:           _ZN2at6native29vectorized_elementwise_kernelILi16EZZZNS0_12_GLOBAL__N_130modified_bessel_i0_kernel_cudaERNS_18TensorIteratorBaseEENKUlvE_clEvENKUlvE_clEvEUldE_St5arrayIPcLm2EEEEviT0_T1_
    .private_segment_fixed_size: 0
    .sgpr_count:     35
    .sgpr_spill_count: 0
    .symbol:         _ZN2at6native29vectorized_elementwise_kernelILi16EZZZNS0_12_GLOBAL__N_130modified_bessel_i0_kernel_cudaERNS_18TensorIteratorBaseEENKUlvE_clEvENKUlvE_clEvEUldE_St5arrayIPcLm2EEEEviT0_T1_.kd
    .uniform_work_group_size: 1
    .uses_dynamic_stack: false
    .vgpr_count:     38
    .vgpr_spill_count: 0
    .wavefront_size: 32
    .workgroup_processor_mode: 1
  - .args:
      - .offset:         0
        .size:           4
        .value_kind:     by_value
      - .offset:         4
        .size:           1
        .value_kind:     by_value
      - .offset:         8
        .size:           16
        .value_kind:     by_value
    .group_segment_fixed_size: 0
    .kernarg_segment_align: 8
    .kernarg_segment_size: 24
    .language:       OpenCL C
    .language_version:
      - 2
      - 0
    .max_flat_workgroup_size: 256
    .name:           _ZN2at6native29vectorized_elementwise_kernelILi8EZZZNS0_12_GLOBAL__N_130modified_bessel_i0_kernel_cudaERNS_18TensorIteratorBaseEENKUlvE_clEvENKUlvE_clEvEUldE_St5arrayIPcLm2EEEEviT0_T1_
    .private_segment_fixed_size: 0
    .sgpr_count:     35
    .sgpr_spill_count: 0
    .symbol:         _ZN2at6native29vectorized_elementwise_kernelILi8EZZZNS0_12_GLOBAL__N_130modified_bessel_i0_kernel_cudaERNS_18TensorIteratorBaseEENKUlvE_clEvENKUlvE_clEvEUldE_St5arrayIPcLm2EEEEviT0_T1_.kd
    .uniform_work_group_size: 1
    .uses_dynamic_stack: false
    .vgpr_count:     38
    .vgpr_spill_count: 0
    .wavefront_size: 32
    .workgroup_processor_mode: 1
  - .args:
      - .offset:         0
        .size:           4
        .value_kind:     by_value
      - .offset:         4
        .size:           1
        .value_kind:     by_value
      - .offset:         8
        .size:           16
        .value_kind:     by_value
    .group_segment_fixed_size: 0
    .kernarg_segment_align: 8
    .kernarg_segment_size: 24
    .language:       OpenCL C
    .language_version:
      - 2
      - 0
    .max_flat_workgroup_size: 256
    .name:           _ZN2at6native29vectorized_elementwise_kernelILi4EZZZNS0_12_GLOBAL__N_130modified_bessel_i0_kernel_cudaERNS_18TensorIteratorBaseEENKUlvE_clEvENKUlvE_clEvEUldE_St5arrayIPcLm2EEEEviT0_T1_
    .private_segment_fixed_size: 0
    .sgpr_count:     35
    .sgpr_spill_count: 0
    .symbol:         _ZN2at6native29vectorized_elementwise_kernelILi4EZZZNS0_12_GLOBAL__N_130modified_bessel_i0_kernel_cudaERNS_18TensorIteratorBaseEENKUlvE_clEvENKUlvE_clEvEUldE_St5arrayIPcLm2EEEEviT0_T1_.kd
    .uniform_work_group_size: 1
    .uses_dynamic_stack: false
    .vgpr_count:     38
    .vgpr_spill_count: 0
    .wavefront_size: 32
    .workgroup_processor_mode: 1
  - .args:
      - .offset:         0
        .size:           4
        .value_kind:     by_value
      - .offset:         4
        .size:           1
        .value_kind:     by_value
      - .offset:         8
        .size:           16
        .value_kind:     by_value
    .group_segment_fixed_size: 0
    .kernarg_segment_align: 8
    .kernarg_segment_size: 24
    .language:       OpenCL C
    .language_version:
      - 2
      - 0
    .max_flat_workgroup_size: 256
    .name:           _ZN2at6native29vectorized_elementwise_kernelILi2EZZZNS0_12_GLOBAL__N_130modified_bessel_i0_kernel_cudaERNS_18TensorIteratorBaseEENKUlvE_clEvENKUlvE_clEvEUldE_St5arrayIPcLm2EEEEviT0_T1_
    .private_segment_fixed_size: 0
    .sgpr_count:     35
    .sgpr_spill_count: 0
    .symbol:         _ZN2at6native29vectorized_elementwise_kernelILi2EZZZNS0_12_GLOBAL__N_130modified_bessel_i0_kernel_cudaERNS_18TensorIteratorBaseEENKUlvE_clEvENKUlvE_clEvEUldE_St5arrayIPcLm2EEEEviT0_T1_.kd
    .uniform_work_group_size: 1
    .uses_dynamic_stack: false
    .vgpr_count:     38
    .vgpr_spill_count: 0
    .wavefront_size: 32
    .workgroup_processor_mode: 1
  - .args:
      - .offset:         0
        .size:           4
        .value_kind:     by_value
      - .offset:         4
        .size:           1
        .value_kind:     by_value
      - .offset:         8
        .size:           16
        .value_kind:     by_value
      - .offset:         24
        .size:           1
        .value_kind:     by_value
      - .offset:         25
        .size:           1
        .value_kind:     by_value
      - .offset:         26
        .size:           1
        .value_kind:     by_value
      - .offset:         27
        .size:           1
        .value_kind:     by_value
    .group_segment_fixed_size: 0
    .kernarg_segment_align: 8
    .kernarg_segment_size: 28
    .language:       OpenCL C
    .language_version:
      - 2
      - 0
    .max_flat_workgroup_size: 256
    .name:           _ZN2at6native27unrolled_elementwise_kernelIZZZNS0_12_GLOBAL__N_130modified_bessel_i0_kernel_cudaERNS_18TensorIteratorBaseEENKUlvE_clEvENKUlvE_clEvEUldE_St5arrayIPcLm2EELi4E23TrivialOffsetCalculatorILi1EjESC_NS0_6memory15LoadWithoutCastENSD_16StoreWithoutCastEEEviT_T0_T2_T3_T4_T5_
    .private_segment_fixed_size: 0
    .sgpr_count:     35
    .sgpr_spill_count: 0
    .symbol:         _ZN2at6native27unrolled_elementwise_kernelIZZZNS0_12_GLOBAL__N_130modified_bessel_i0_kernel_cudaERNS_18TensorIteratorBaseEENKUlvE_clEvENKUlvE_clEvEUldE_St5arrayIPcLm2EELi4E23TrivialOffsetCalculatorILi1EjESC_NS0_6memory15LoadWithoutCastENSD_16StoreWithoutCastEEEviT_T0_T2_T3_T4_T5_.kd
    .uniform_work_group_size: 1
    .uses_dynamic_stack: false
    .vgpr_count:     38
    .vgpr_spill_count: 0
    .wavefront_size: 32
    .workgroup_processor_mode: 1
  - .args:
      - .offset:         0
        .size:           4
        .value_kind:     by_value
      - .offset:         8
        .size:           352
        .value_kind:     by_value
    .group_segment_fixed_size: 0
    .kernarg_segment_align: 8
    .kernarg_segment_size: 360
    .language:       OpenCL C
    .language_version:
      - 2
      - 0
    .max_flat_workgroup_size: 128
    .name:           _ZN2at6native32elementwise_kernel_manual_unrollILi128ELi4EZNS0_22gpu_kernel_impl_nocastIZZZNS0_12_GLOBAL__N_130modified_bessel_i0_kernel_cudaERNS_18TensorIteratorBaseEENKUlvE_clEvENKUlvE_clEvEUldE_EEvS5_RKT_EUlibE_EEviT1_
    .private_segment_fixed_size: 0
    .sgpr_count:     58
    .sgpr_spill_count: 0
    .symbol:         _ZN2at6native32elementwise_kernel_manual_unrollILi128ELi4EZNS0_22gpu_kernel_impl_nocastIZZZNS0_12_GLOBAL__N_130modified_bessel_i0_kernel_cudaERNS_18TensorIteratorBaseEENKUlvE_clEvENKUlvE_clEvEUldE_EEvS5_RKT_EUlibE_EEviT1_.kd
    .uniform_work_group_size: 1
    .uses_dynamic_stack: false
    .vgpr_count:     33
    .vgpr_spill_count: 0
    .wavefront_size: 32
    .workgroup_processor_mode: 1
  - .args:
      - .offset:         0
        .size:           4
        .value_kind:     by_value
      - .offset:         8
        .size:           32
        .value_kind:     by_value
    .group_segment_fixed_size: 0
    .kernarg_segment_align: 8
    .kernarg_segment_size: 40
    .language:       OpenCL C
    .language_version:
      - 2
      - 0
    .max_flat_workgroup_size: 128
    .name:           _ZN2at6native32elementwise_kernel_manual_unrollILi128ELi4EZNS0_15gpu_kernel_implIZZZNS0_12_GLOBAL__N_130modified_bessel_i0_kernel_cudaERNS_18TensorIteratorBaseEENKUlvE_clEvENKUlvE_clEvEUldE_EEvS5_RKT_EUlibE_EEviT1_
    .private_segment_fixed_size: 0
    .sgpr_count:     28
    .sgpr_spill_count: 0
    .symbol:         _ZN2at6native32elementwise_kernel_manual_unrollILi128ELi4EZNS0_15gpu_kernel_implIZZZNS0_12_GLOBAL__N_130modified_bessel_i0_kernel_cudaERNS_18TensorIteratorBaseEENKUlvE_clEvENKUlvE_clEvEUldE_EEvS5_RKT_EUlibE_EEviT1_.kd
    .uniform_work_group_size: 1
    .uses_dynamic_stack: false
    .vgpr_count:     29
    .vgpr_spill_count: 0
    .wavefront_size: 32
    .workgroup_processor_mode: 1
  - .args:
      - .offset:         0
        .size:           4
        .value_kind:     by_value
      - .offset:         8
        .size:           352
        .value_kind:     by_value
    .group_segment_fixed_size: 0
    .kernarg_segment_align: 8
    .kernarg_segment_size: 360
    .language:       OpenCL C
    .language_version:
      - 2
      - 0
    .max_flat_workgroup_size: 128
    .name:           _ZN2at6native32elementwise_kernel_manual_unrollILi128ELi4EZNS0_15gpu_kernel_implIZZZNS0_12_GLOBAL__N_130modified_bessel_i0_kernel_cudaERNS_18TensorIteratorBaseEENKUlvE_clEvENKUlvE_clEvEUldE_EEvS5_RKT_EUlibE0_EEviT1_
    .private_segment_fixed_size: 0
    .sgpr_count:     70
    .sgpr_spill_count: 0
    .symbol:         _ZN2at6native32elementwise_kernel_manual_unrollILi128ELi4EZNS0_15gpu_kernel_implIZZZNS0_12_GLOBAL__N_130modified_bessel_i0_kernel_cudaERNS_18TensorIteratorBaseEENKUlvE_clEvENKUlvE_clEvEUldE_EEvS5_RKT_EUlibE0_EEviT1_.kd
    .uniform_work_group_size: 1
    .uses_dynamic_stack: false
    .vgpr_count:     35
    .vgpr_spill_count: 0
    .wavefront_size: 32
    .workgroup_processor_mode: 1
  - .args:
      - .offset:         0
        .size:           4
        .value_kind:     by_value
      - .offset:         4
        .size:           1
        .value_kind:     by_value
      - .offset:         8
        .size:           16
        .value_kind:     by_value
    .group_segment_fixed_size: 0
    .kernarg_segment_align: 8
    .kernarg_segment_size: 24
    .language:       OpenCL C
    .language_version:
      - 2
      - 0
    .max_flat_workgroup_size: 256
    .name:           _ZN2at6native29vectorized_elementwise_kernelILi16EZZZNS0_12_GLOBAL__N_130modified_bessel_i0_kernel_cudaERNS_18TensorIteratorBaseEENKUlvE_clEvENKUlvE0_clEvEUlfE_St5arrayIPcLm2EEEEviT0_T1_
    .private_segment_fixed_size: 0
    .sgpr_count:     35
    .sgpr_spill_count: 0
    .symbol:         _ZN2at6native29vectorized_elementwise_kernelILi16EZZZNS0_12_GLOBAL__N_130modified_bessel_i0_kernel_cudaERNS_18TensorIteratorBaseEENKUlvE_clEvENKUlvE0_clEvEUlfE_St5arrayIPcLm2EEEEviT0_T1_.kd
    .uniform_work_group_size: 1
    .uses_dynamic_stack: false
    .vgpr_count:     32
    .vgpr_spill_count: 0
    .wavefront_size: 32
    .workgroup_processor_mode: 1
  - .args:
      - .offset:         0
        .size:           4
        .value_kind:     by_value
      - .offset:         4
        .size:           1
        .value_kind:     by_value
      - .offset:         8
        .size:           16
        .value_kind:     by_value
    .group_segment_fixed_size: 0
    .kernarg_segment_align: 8
    .kernarg_segment_size: 24
    .language:       OpenCL C
    .language_version:
      - 2
      - 0
    .max_flat_workgroup_size: 256
    .name:           _ZN2at6native29vectorized_elementwise_kernelILi8EZZZNS0_12_GLOBAL__N_130modified_bessel_i0_kernel_cudaERNS_18TensorIteratorBaseEENKUlvE_clEvENKUlvE0_clEvEUlfE_St5arrayIPcLm2EEEEviT0_T1_
    .private_segment_fixed_size: 0
    .sgpr_count:     35
    .sgpr_spill_count: 0
    .symbol:         _ZN2at6native29vectorized_elementwise_kernelILi8EZZZNS0_12_GLOBAL__N_130modified_bessel_i0_kernel_cudaERNS_18TensorIteratorBaseEENKUlvE_clEvENKUlvE0_clEvEUlfE_St5arrayIPcLm2EEEEviT0_T1_.kd
    .uniform_work_group_size: 1
    .uses_dynamic_stack: false
    .vgpr_count:     32
    .vgpr_spill_count: 0
    .wavefront_size: 32
    .workgroup_processor_mode: 1
  - .args:
      - .offset:         0
        .size:           4
        .value_kind:     by_value
      - .offset:         4
        .size:           1
        .value_kind:     by_value
      - .offset:         8
        .size:           16
        .value_kind:     by_value
    .group_segment_fixed_size: 0
    .kernarg_segment_align: 8
    .kernarg_segment_size: 24
    .language:       OpenCL C
    .language_version:
      - 2
      - 0
    .max_flat_workgroup_size: 256
    .name:           _ZN2at6native29vectorized_elementwise_kernelILi4EZZZNS0_12_GLOBAL__N_130modified_bessel_i0_kernel_cudaERNS_18TensorIteratorBaseEENKUlvE_clEvENKUlvE0_clEvEUlfE_St5arrayIPcLm2EEEEviT0_T1_
    .private_segment_fixed_size: 0
    .sgpr_count:     35
    .sgpr_spill_count: 0
    .symbol:         _ZN2at6native29vectorized_elementwise_kernelILi4EZZZNS0_12_GLOBAL__N_130modified_bessel_i0_kernel_cudaERNS_18TensorIteratorBaseEENKUlvE_clEvENKUlvE0_clEvEUlfE_St5arrayIPcLm2EEEEviT0_T1_.kd
    .uniform_work_group_size: 1
    .uses_dynamic_stack: false
    .vgpr_count:     32
    .vgpr_spill_count: 0
    .wavefront_size: 32
    .workgroup_processor_mode: 1
  - .args:
      - .offset:         0
        .size:           4
        .value_kind:     by_value
      - .offset:         4
        .size:           1
        .value_kind:     by_value
      - .offset:         8
        .size:           16
        .value_kind:     by_value
    .group_segment_fixed_size: 0
    .kernarg_segment_align: 8
    .kernarg_segment_size: 24
    .language:       OpenCL C
    .language_version:
      - 2
      - 0
    .max_flat_workgroup_size: 256
    .name:           _ZN2at6native29vectorized_elementwise_kernelILi2EZZZNS0_12_GLOBAL__N_130modified_bessel_i0_kernel_cudaERNS_18TensorIteratorBaseEENKUlvE_clEvENKUlvE0_clEvEUlfE_St5arrayIPcLm2EEEEviT0_T1_
    .private_segment_fixed_size: 0
    .sgpr_count:     35
    .sgpr_spill_count: 0
    .symbol:         _ZN2at6native29vectorized_elementwise_kernelILi2EZZZNS0_12_GLOBAL__N_130modified_bessel_i0_kernel_cudaERNS_18TensorIteratorBaseEENKUlvE_clEvENKUlvE0_clEvEUlfE_St5arrayIPcLm2EEEEviT0_T1_.kd
    .uniform_work_group_size: 1
    .uses_dynamic_stack: false
    .vgpr_count:     32
    .vgpr_spill_count: 0
    .wavefront_size: 32
    .workgroup_processor_mode: 1
  - .args:
      - .offset:         0
        .size:           4
        .value_kind:     by_value
      - .offset:         4
        .size:           1
        .value_kind:     by_value
      - .offset:         8
        .size:           16
        .value_kind:     by_value
      - .offset:         24
        .size:           1
        .value_kind:     by_value
      - .offset:         25
        .size:           1
        .value_kind:     by_value
      - .offset:         26
        .size:           1
        .value_kind:     by_value
      - .offset:         27
        .size:           1
        .value_kind:     by_value
    .group_segment_fixed_size: 0
    .kernarg_segment_align: 8
    .kernarg_segment_size: 28
    .language:       OpenCL C
    .language_version:
      - 2
      - 0
    .max_flat_workgroup_size: 256
    .name:           _ZN2at6native27unrolled_elementwise_kernelIZZZNS0_12_GLOBAL__N_130modified_bessel_i0_kernel_cudaERNS_18TensorIteratorBaseEENKUlvE_clEvENKUlvE0_clEvEUlfE_St5arrayIPcLm2EELi4E23TrivialOffsetCalculatorILi1EjESC_NS0_6memory15LoadWithoutCastENSD_16StoreWithoutCastEEEviT_T0_T2_T3_T4_T5_
    .private_segment_fixed_size: 0
    .sgpr_count:     35
    .sgpr_spill_count: 0
    .symbol:         _ZN2at6native27unrolled_elementwise_kernelIZZZNS0_12_GLOBAL__N_130modified_bessel_i0_kernel_cudaERNS_18TensorIteratorBaseEENKUlvE_clEvENKUlvE0_clEvEUlfE_St5arrayIPcLm2EELi4E23TrivialOffsetCalculatorILi1EjESC_NS0_6memory15LoadWithoutCastENSD_16StoreWithoutCastEEEviT_T0_T2_T3_T4_T5_.kd
    .uniform_work_group_size: 1
    .uses_dynamic_stack: false
    .vgpr_count:     32
    .vgpr_spill_count: 0
    .wavefront_size: 32
    .workgroup_processor_mode: 1
  - .args:
      - .offset:         0
        .size:           4
        .value_kind:     by_value
      - .offset:         8
        .size:           352
        .value_kind:     by_value
    .group_segment_fixed_size: 0
    .kernarg_segment_align: 8
    .kernarg_segment_size: 360
    .language:       OpenCL C
    .language_version:
      - 2
      - 0
    .max_flat_workgroup_size: 128
    .name:           _ZN2at6native32elementwise_kernel_manual_unrollILi128ELi4EZNS0_22gpu_kernel_impl_nocastIZZZNS0_12_GLOBAL__N_130modified_bessel_i0_kernel_cudaERNS_18TensorIteratorBaseEENKUlvE_clEvENKUlvE0_clEvEUlfE_EEvS5_RKT_EUlibE_EEviT1_
    .private_segment_fixed_size: 0
    .sgpr_count:     58
    .sgpr_spill_count: 0
    .symbol:         _ZN2at6native32elementwise_kernel_manual_unrollILi128ELi4EZNS0_22gpu_kernel_impl_nocastIZZZNS0_12_GLOBAL__N_130modified_bessel_i0_kernel_cudaERNS_18TensorIteratorBaseEENKUlvE_clEvENKUlvE0_clEvEUlfE_EEvS5_RKT_EUlibE_EEviT1_.kd
    .uniform_work_group_size: 1
    .uses_dynamic_stack: false
    .vgpr_count:     19
    .vgpr_spill_count: 0
    .wavefront_size: 32
    .workgroup_processor_mode: 1
  - .args:
      - .offset:         0
        .size:           4
        .value_kind:     by_value
      - .offset:         8
        .size:           32
        .value_kind:     by_value
    .group_segment_fixed_size: 0
    .kernarg_segment_align: 8
    .kernarg_segment_size: 40
    .language:       OpenCL C
    .language_version:
      - 2
      - 0
    .max_flat_workgroup_size: 128
    .name:           _ZN2at6native32elementwise_kernel_manual_unrollILi128ELi4EZNS0_15gpu_kernel_implIZZZNS0_12_GLOBAL__N_130modified_bessel_i0_kernel_cudaERNS_18TensorIteratorBaseEENKUlvE_clEvENKUlvE0_clEvEUlfE_EEvS5_RKT_EUlibE_EEviT1_
    .private_segment_fixed_size: 0
    .sgpr_count:     28
    .sgpr_spill_count: 0
    .symbol:         _ZN2at6native32elementwise_kernel_manual_unrollILi128ELi4EZNS0_15gpu_kernel_implIZZZNS0_12_GLOBAL__N_130modified_bessel_i0_kernel_cudaERNS_18TensorIteratorBaseEENKUlvE_clEvENKUlvE0_clEvEUlfE_EEvS5_RKT_EUlibE_EEviT1_.kd
    .uniform_work_group_size: 1
    .uses_dynamic_stack: false
    .vgpr_count:     16
    .vgpr_spill_count: 0
    .wavefront_size: 32
    .workgroup_processor_mode: 1
  - .args:
      - .offset:         0
        .size:           4
        .value_kind:     by_value
      - .offset:         8
        .size:           352
        .value_kind:     by_value
    .group_segment_fixed_size: 0
    .kernarg_segment_align: 8
    .kernarg_segment_size: 360
    .language:       OpenCL C
    .language_version:
      - 2
      - 0
    .max_flat_workgroup_size: 128
    .name:           _ZN2at6native32elementwise_kernel_manual_unrollILi128ELi4EZNS0_15gpu_kernel_implIZZZNS0_12_GLOBAL__N_130modified_bessel_i0_kernel_cudaERNS_18TensorIteratorBaseEENKUlvE_clEvENKUlvE0_clEvEUlfE_EEvS5_RKT_EUlibE0_EEviT1_
    .private_segment_fixed_size: 0
    .sgpr_count:     70
    .sgpr_spill_count: 0
    .symbol:         _ZN2at6native32elementwise_kernel_manual_unrollILi128ELi4EZNS0_15gpu_kernel_implIZZZNS0_12_GLOBAL__N_130modified_bessel_i0_kernel_cudaERNS_18TensorIteratorBaseEENKUlvE_clEvENKUlvE0_clEvEUlfE_EEvS5_RKT_EUlibE0_EEviT1_.kd
    .uniform_work_group_size: 1
    .uses_dynamic_stack: false
    .vgpr_count:     19
    .vgpr_spill_count: 0
    .wavefront_size: 32
    .workgroup_processor_mode: 1
amdhsa.target:   amdgcn-amd-amdhsa--gfx1030
amdhsa.version:
  - 1
  - 2
...

	.end_amdgpu_metadata
